;; amdgpu-corpus repo=ROCm/rocSOLVER kind=compiled arch=gfx950 opt=O3
	.amdgcn_target "amdgcn-amd-amdhsa--gfx950"
	.amdhsa_code_object_version 6
	.section	.text._ZN9rocsolver6v33100L10reset_infoIiiiEEvPT_T0_T1_S4_,"axG",@progbits,_ZN9rocsolver6v33100L10reset_infoIiiiEEvPT_T0_T1_S4_,comdat
	.globl	_ZN9rocsolver6v33100L10reset_infoIiiiEEvPT_T0_T1_S4_ ; -- Begin function _ZN9rocsolver6v33100L10reset_infoIiiiEEvPT_T0_T1_S4_
	.p2align	8
	.type	_ZN9rocsolver6v33100L10reset_infoIiiiEEvPT_T0_T1_S4_,@function
_ZN9rocsolver6v33100L10reset_infoIiiiEEvPT_T0_T1_S4_: ; @_ZN9rocsolver6v33100L10reset_infoIiiiEEvPT_T0_T1_S4_
; %bb.0:
	s_load_dword s3, s[0:1], 0x24
	s_load_dwordx4 s[4:7], s[0:1], 0x8
	s_waitcnt lgkmcnt(0)
	s_and_b32 s3, s3, 0xffff
	s_mul_i32 s2, s2, s3
	v_add_u32_e32 v0, s2, v0
	v_cmp_gt_i32_e32 vcc, s4, v0
	s_and_saveexec_b64 s[2:3], vcc
	s_cbranch_execz .LBB0_2
; %bb.1:
	s_load_dwordx2 s[0:1], s[0:1], 0x0
	v_ashrrev_i32_e32 v1, 31, v0
	v_mul_lo_u32 v2, v0, s6
	v_add_u32_e32 v2, s5, v2
	s_waitcnt lgkmcnt(0)
	v_lshl_add_u64 v[0:1], v[0:1], 2, s[0:1]
	global_store_dword v[0:1], v2, off
.LBB0_2:
	s_endpgm
	.section	.rodata,"a",@progbits
	.p2align	6, 0x0
	.amdhsa_kernel _ZN9rocsolver6v33100L10reset_infoIiiiEEvPT_T0_T1_S4_
		.amdhsa_group_segment_fixed_size 0
		.amdhsa_private_segment_fixed_size 0
		.amdhsa_kernarg_size 280
		.amdhsa_user_sgpr_count 2
		.amdhsa_user_sgpr_dispatch_ptr 0
		.amdhsa_user_sgpr_queue_ptr 0
		.amdhsa_user_sgpr_kernarg_segment_ptr 1
		.amdhsa_user_sgpr_dispatch_id 0
		.amdhsa_user_sgpr_kernarg_preload_length 0
		.amdhsa_user_sgpr_kernarg_preload_offset 0
		.amdhsa_user_sgpr_private_segment_size 0
		.amdhsa_uses_dynamic_stack 0
		.amdhsa_enable_private_segment 0
		.amdhsa_system_sgpr_workgroup_id_x 1
		.amdhsa_system_sgpr_workgroup_id_y 0
		.amdhsa_system_sgpr_workgroup_id_z 0
		.amdhsa_system_sgpr_workgroup_info 0
		.amdhsa_system_vgpr_workitem_id 0
		.amdhsa_next_free_vgpr 3
		.amdhsa_next_free_sgpr 8
		.amdhsa_accum_offset 4
		.amdhsa_reserve_vcc 1
		.amdhsa_float_round_mode_32 0
		.amdhsa_float_round_mode_16_64 0
		.amdhsa_float_denorm_mode_32 3
		.amdhsa_float_denorm_mode_16_64 3
		.amdhsa_dx10_clamp 1
		.amdhsa_ieee_mode 1
		.amdhsa_fp16_overflow 0
		.amdhsa_tg_split 0
		.amdhsa_exception_fp_ieee_invalid_op 0
		.amdhsa_exception_fp_denorm_src 0
		.amdhsa_exception_fp_ieee_div_zero 0
		.amdhsa_exception_fp_ieee_overflow 0
		.amdhsa_exception_fp_ieee_underflow 0
		.amdhsa_exception_fp_ieee_inexact 0
		.amdhsa_exception_int_div_zero 0
	.end_amdhsa_kernel
	.section	.text._ZN9rocsolver6v33100L10reset_infoIiiiEEvPT_T0_T1_S4_,"axG",@progbits,_ZN9rocsolver6v33100L10reset_infoIiiiEEvPT_T0_T1_S4_,comdat
.Lfunc_end0:
	.size	_ZN9rocsolver6v33100L10reset_infoIiiiEEvPT_T0_T1_S4_, .Lfunc_end0-_ZN9rocsolver6v33100L10reset_infoIiiiEEvPT_T0_T1_S4_
                                        ; -- End function
	.set _ZN9rocsolver6v33100L10reset_infoIiiiEEvPT_T0_T1_S4_.num_vgpr, 3
	.set _ZN9rocsolver6v33100L10reset_infoIiiiEEvPT_T0_T1_S4_.num_agpr, 0
	.set _ZN9rocsolver6v33100L10reset_infoIiiiEEvPT_T0_T1_S4_.numbered_sgpr, 8
	.set _ZN9rocsolver6v33100L10reset_infoIiiiEEvPT_T0_T1_S4_.num_named_barrier, 0
	.set _ZN9rocsolver6v33100L10reset_infoIiiiEEvPT_T0_T1_S4_.private_seg_size, 0
	.set _ZN9rocsolver6v33100L10reset_infoIiiiEEvPT_T0_T1_S4_.uses_vcc, 1
	.set _ZN9rocsolver6v33100L10reset_infoIiiiEEvPT_T0_T1_S4_.uses_flat_scratch, 0
	.set _ZN9rocsolver6v33100L10reset_infoIiiiEEvPT_T0_T1_S4_.has_dyn_sized_stack, 0
	.set _ZN9rocsolver6v33100L10reset_infoIiiiEEvPT_T0_T1_S4_.has_recursion, 0
	.set _ZN9rocsolver6v33100L10reset_infoIiiiEEvPT_T0_T1_S4_.has_indirect_call, 0
	.section	.AMDGPU.csdata,"",@progbits
; Kernel info:
; codeLenInByte = 96
; TotalNumSgprs: 14
; NumVgprs: 3
; NumAgprs: 0
; TotalNumVgprs: 3
; ScratchSize: 0
; MemoryBound: 0
; FloatMode: 240
; IeeeMode: 1
; LDSByteSize: 0 bytes/workgroup (compile time only)
; SGPRBlocks: 1
; VGPRBlocks: 0
; NumSGPRsForWavesPerEU: 14
; NumVGPRsForWavesPerEU: 3
; AccumOffset: 4
; Occupancy: 8
; WaveLimiterHint : 0
; COMPUTE_PGM_RSRC2:SCRATCH_EN: 0
; COMPUTE_PGM_RSRC2:USER_SGPR: 2
; COMPUTE_PGM_RSRC2:TRAP_HANDLER: 0
; COMPUTE_PGM_RSRC2:TGID_X_EN: 1
; COMPUTE_PGM_RSRC2:TGID_Y_EN: 0
; COMPUTE_PGM_RSRC2:TGID_Z_EN: 0
; COMPUTE_PGM_RSRC2:TIDIG_COMP_CNT: 0
; COMPUTE_PGM_RSRC3_GFX90A:ACCUM_OFFSET: 0
; COMPUTE_PGM_RSRC3_GFX90A:TG_SPLIT: 0
	.section	.text._ZN9rocsolver6v33100L12stein_kernelIffPfEEviPT0_lS4_lPiS4_lS5_lS5_lT1_iilS5_lS5_S4_S5_S3_S3_,"axG",@progbits,_ZN9rocsolver6v33100L12stein_kernelIffPfEEviPT0_lS4_lPiS4_lS5_lS5_lT1_iilS5_lS5_S4_S5_S3_S3_,comdat
	.globl	_ZN9rocsolver6v33100L12stein_kernelIffPfEEviPT0_lS4_lPiS4_lS5_lS5_lT1_iilS5_lS5_S4_S5_S3_S3_ ; -- Begin function _ZN9rocsolver6v33100L12stein_kernelIffPfEEviPT0_lS4_lPiS4_lS5_lS5_lT1_iilS5_lS5_S4_S5_S3_S3_
	.p2align	8
	.type	_ZN9rocsolver6v33100L12stein_kernelIffPfEEviPT0_lS4_lPiS4_lS5_lS5_lT1_iilS5_lS5_S4_S5_S3_S3_,@function
_ZN9rocsolver6v33100L12stein_kernelIffPfEEviPT0_lS4_lPiS4_lS5_lS5_lT1_iilS5_lS5_S4_S5_S3_S3_: ; @_ZN9rocsolver6v33100L12stein_kernelIffPfEEviPT0_lS4_lPiS4_lS5_lS5_lT1_iilS5_lS5_S4_S5_S3_S3_
; %bb.0:
	s_load_dwordx16 s[36:51], s[0:1], 0x8
	s_mov_b32 s2, s3
	s_ashr_i32 s3, s3, 31
	s_lshl_b64 s[6:7], s[2:3], 2
	s_waitcnt lgkmcnt(0)
	s_add_u32 s4, s44, s6
	s_addc_u32 s5, s45, s7
	s_load_dword s26, s[4:5], 0x0
	s_waitcnt lgkmcnt(0)
	s_cmp_lt_i32 s26, 1
	s_cbranch_scc1 .LBB1_268
; %bb.1:
	s_load_dwordx8 s[16:23], s[0:1], 0x70
	s_load_dwordx4 s[12:15], s[0:1], 0x90
                                        ; implicit-def: $vgpr48 : SGPR spill to VGPR lane
	s_mov_b64 s[24:25], 0
	v_writelane_b32 v48, s6, 0
	s_waitcnt lgkmcnt(0)
	s_cmp_eq_u64 s[18:19], 0
	v_writelane_b32 v48, s7, 1
	s_cbranch_scc1 .LBB1_3
; %bb.2:
	s_mul_i32 s4, s20, s3
	s_mul_hi_u32 s5, s20, s2
	s_add_i32 s4, s5, s4
	s_mul_i32 s5, s21, s2
	s_add_i32 s5, s4, s5
	s_mul_i32 s4, s20, s2
	s_lshl_b64 s[4:5], s[4:5], 2
	s_add_u32 s24, s18, s4
	s_addc_u32 s25, s19, s5
.LBB1_3:
	v_writelane_b32 v48, s16, 2
	s_nop 1
	v_writelane_b32 v48, s17, 3
	v_writelane_b32 v48, s18, 4
	v_writelane_b32 v48, s19, 5
	v_writelane_b32 v48, s20, 6
	v_writelane_b32 v48, s21, 7
	v_writelane_b32 v48, s22, 8
	v_writelane_b32 v48, s23, 9
	v_cmp_eq_u32_e64 s[18:19], 0, v0
	s_and_saveexec_b64 s[4:5], s[18:19]
; %bb.4:
	v_mov_b32_e32 v1, 0
	ds_write_b32 v1, v1
; %bb.5:
	s_or_b64 exec, exec, s[4:5]
	s_cmp_lg_u64 s[24:25], 0
	s_cselect_b64 s[20:21], -1, 0
	v_cmp_gt_u32_e32 vcc, s26, v0
	s_and_b64 s[6:7], vcc, s[20:21]
	s_and_saveexec_b64 s[4:5], s[6:7]
	s_cbranch_execz .LBB1_13
; %bb.6:
	v_xad_u32 v1, v0, -1, s26
	s_movk_i32 s6, 0xff
	v_cmp_lt_u32_e32 vcc, s6, v1
	s_mov_b64 s[8:9], -1
	v_mov_b32_e32 v2, v0
	s_and_saveexec_b64 s[6:7], vcc
	s_cbranch_execz .LBB1_10
; %bb.7:
	v_lshrrev_b32_e32 v1, 8, v1
	v_add_u32_e32 v6, 1, v1
	v_and_b32_e32 v7, 0x1fffffe, v6
	v_or_b32_e32 v1, 0x100, v0
	s_mov_b64 s[8:9], 0
	v_mov_b32_e32 v3, 0
	v_mov_b32_e32 v8, v7
	v_mov_b64_e32 v[4:5], v[0:1]
.LBB1_8:                                ; =>This Inner Loop Header: Depth=1
	v_mov_b32_e32 v2, v4
	v_add_u32_e32 v8, -2, v8
	v_lshl_add_u64 v[10:11], v[2:3], 2, s[24:25]
	v_mov_b32_e32 v2, v5
	v_cmp_eq_u32_e32 vcc, 0, v8
	v_add_u32_e32 v4, 0x200, v4
	v_add_u32_e32 v5, 0x200, v5
	v_lshl_add_u64 v[12:13], v[2:3], 2, s[24:25]
	s_or_b64 s[8:9], vcc, s[8:9]
	global_store_dword v[10:11], v3, off
	global_store_dword v[12:13], v3, off
	s_andn2_b64 exec, exec, s[8:9]
	s_cbranch_execnz .LBB1_8
; %bb.9:
	s_or_b64 exec, exec, s[8:9]
	v_cmp_ne_u32_e32 vcc, v6, v7
	v_lshl_or_b32 v2, v7, 8, v0
	s_orn2_b64 s[8:9], vcc, exec
.LBB1_10:
	s_or_b64 exec, exec, s[6:7]
	s_and_b64 exec, exec, s[8:9]
	s_cbranch_execz .LBB1_13
; %bb.11:
	v_mov_b32_e32 v3, 0
	v_lshl_add_u64 v[4:5], v[2:3], 2, s[24:25]
	s_mov_b64 s[6:7], 0
	s_mov_b64 s[8:9], 0x400
.LBB1_12:                               ; =>This Inner Loop Header: Depth=1
	v_add_u32_e32 v2, 0x100, v2
	v_cmp_le_i32_e32 vcc, s26, v2
	global_store_dword v[4:5], v3, off
	s_or_b64 s[6:7], vcc, s[6:7]
	v_lshl_add_u64 v[4:5], v[4:5], 0, s[8:9]
	s_andn2_b64 exec, exec, s[6:7]
	s_cbranch_execnz .LBB1_12
.LBB1_13:
	v_writelane_b32 v48, s24, 10
	s_nop 1
	v_writelane_b32 v48, s25, 11
	s_or_b64 exec, exec, s[4:5]
	s_load_dwordx8 s[4:11], s[0:1], 0x48
	s_mov_b32 s31, 0
	s_mov_b32 s27, s31
	v_mov_b32_e32 v3, 0
	s_waitcnt lgkmcnt(0)
	s_mul_i32 s16, s4, s3
	s_mul_hi_u32 s17, s4, s2
	s_mul_i32 s5, s5, s2
	s_add_i32 s16, s17, s16
	s_mul_i32 s4, s4, s2
	s_add_i32 s5, s16, s5
	s_lshl_b64 s[4:5], s[4:5], 2
	s_add_u32 s33, s50, s4
	s_addc_u32 s68, s51, s5
	s_lshl_b64 s[4:5], s[26:27], 2
	s_add_u32 s4, s33, s4
	s_addc_u32 s5, s68, s5
	v_writelane_b32 v48, s4, 12
	s_nop 1
	v_writelane_b32 v48, s5, 13
	s_nop 1
	global_load_dword v14, v3, s[4:5] offset:-4
	s_waitcnt vmcnt(0)
	v_cmp_gt_i32_e32 vcc, 1, v14
	s_cbranch_vccnz .LBB1_266
; %bb.14:
	s_load_dword s44, s[0:1], 0x0
	s_mul_i32 s4, s38, s3
	s_load_dwordx2 s[50:51], s[0:1], 0x68
	s_load_dwordx2 s[52:53], s[0:1], 0xa0
	s_mul_hi_u32 s0, s38, s2
	s_add_i32 s0, s0, s4
	s_mul_i32 s1, s39, s2
	s_add_i32 s1, s0, s1
	s_mul_i32 s0, s38, s2
	s_waitcnt lgkmcnt(0)
	s_ashr_i32 s45, s44, 31
	s_lshl_b64 s[0:1], s[0:1], 2
	s_add_u32 s36, s36, s0
	s_addc_u32 s37, s37, s1
	s_mul_i32 s0, s42, s3
	s_mul_hi_u32 s1, s42, s2
	s_add_i32 s0, s1, s0
	s_mul_i32 s1, s43, s2
	s_add_i32 s1, s0, s1
	s_mul_i32 s0, s42, s2
	s_lshl_b64 s[0:1], s[0:1], 2
	s_add_u32 s22, s40, s0
	s_addc_u32 s23, s41, s1
	s_mul_i32 s0, s48, s3
	s_mul_hi_u32 s1, s48, s2
	s_add_i32 s0, s1, s0
	s_mul_i32 s1, s49, s2
	s_add_i32 s1, s0, s1
	s_mul_i32 s0, s48, s2
	;; [unrolled: 9-line block ×3, first 2 shown]
	s_lshl_b64 s[0:1], s[0:1], 2
	s_mul_i32 s5, s44, 5
	s_add_u32 s91, s6, s0
	s_addc_u32 s24, s7, s1
	s_mul_hi_i32 s1, s5, s2
	s_mul_i32 s0, s5, s2
	s_lshl_b64 s[0:1], s[0:1], 2
	v_readlane_b32 s56, v48, 2
	s_add_u32 s40, s12, s0
	s_mul_hi_i32 s5, s44, s2
	s_mul_i32 s4, s44, s2
	v_readlane_b32 s57, v48, 3
	s_addc_u32 s41, s13, s1
	s_lshl_b64 s[4:5], s[4:5], 2
	s_mov_b64 s[8:9], s[56:57]
	s_add_u32 s42, s14, s4
	s_mul_i32 s3, s8, s3
	s_mul_hi_u32 s6, s8, s2
	s_addc_u32 s43, s15, s5
	s_add_i32 s3, s6, s3
	s_mul_i32 s6, s9, s2
	s_add_i32 s3, s3, s6
	s_mul_i32 s2, s8, s2
	s_ashr_i32 s5, s50, 31
	s_lshl_b64 s[2:3], s[2:3], 2
	s_mov_b32 s4, s50
	s_add_u32 s6, s10, s2
	s_addc_u32 s7, s11, s3
	s_lshl_b64 s[2:3], s[4:5], 2
	s_add_u32 s46, s6, s2
	s_mul_i32 s4, s44, 3
	s_addc_u32 s47, s7, s3
	s_ashr_i32 s5, s4, 31
	s_mov_b32 s2, s4
	s_lshl_b64 s[4:5], s[4:5], 2
	v_readlane_b32 s58, v48, 4
	v_readlane_b32 s59, v48, 5
	;; [unrolled: 1-line block ×6, first 2 shown]
	v_writelane_b32 v48, s2, 14
	s_add_u32 s54, s40, s4
	s_addc_u32 s55, s41, s5
	v_writelane_b32 v48, s3, 15
	s_lshl_b64 s[2:3], s[44:45], 3
	s_sub_u32 s50, 0, s2
	s_subb_u32 s28, 0, s3
	s_add_u32 s56, s54, s50
	s_addc_u32 s57, s55, s28
	s_lshl_b64 s[6:7], s[44:45], 2
	s_add_u32 s58, s56, s6
	s_addc_u32 s59, s57, s7
	s_add_u32 s60, s58, s2
	v_max_f32_e64 v1, s52, s52
	s_addc_u32 s61, s59, s3
	v_max_f32_e32 v28, 0, v1
	v_div_scale_f32 v1, s[2:3], s53, s53, 1.0
	v_rcp_f32_e32 v4, v1
	s_and_b64 s[62:63], s[18:19], s[20:21]
	s_add_u32 s6, s22, 4
	v_writelane_b32 v48, s6, 16
	s_addc_u32 s6, s23, 0
	v_writelane_b32 v48, s6, 17
	s_add_u32 s6, s36, 4
	v_fma_f32 v5, -v1, v4, 1.0
	v_writelane_b32 v48, s6, 18
	s_addc_u32 s6, s37, 0
	v_fmac_f32_e32 v4, v5, v4
	v_div_scale_f32 v5, vcc, 1.0, s53, 1.0
	s_add_u32 s0, s0, s4
	v_mul_f32_e32 v6, v5, v4
	s_addc_u32 s1, s1, s5
	v_fma_f32 v7, -v1, v6, v5
	s_add_u32 s0, s12, s0
	v_fmac_f32_e32 v6, v7, v4
	s_addc_u32 s1, s13, s1
	s_lshl_b32 s29, s44, 1
	v_fma_f32 v1, -v1, v6, v5
	v_add_u32_e32 v12, s44, v0
	s_add_u32 s64, s0, 8
	v_div_fmas_f32 v1, v1, v4, v6
	v_writelane_b32 v48, s6, 19
	v_ashrrev_i32_e32 v13, 31, v12
	s_addc_u32 s65, s1, 0
	v_lshlrev_b32_e32 v2, 2, v0
	s_movk_i32 s2, 0x80
	v_div_fixup_f32 v4, v1, s53, 1.0
	v_lshl_add_u64 v[12:13], v[12:13], 2, s[40:41]
	s_add_u32 s66, s40, 4
	s_mov_b32 s70, 0xff800000
	v_writelane_b32 v48, s22, 20
	v_add_u32_e32 v29, 8, v2
	v_cmp_gt_u32_e64 s[2:3], s2, v0
	v_not_b32_e32 v30, v0
	v_or_b32_e32 v1, 0x100, v0
	v_mov_b32_e32 v5, v4
	v_mov_b64_e32 v[6:7], v[2:3]
	v_lshl_add_u64 v[8:9], s[40:41], 0, v[2:3]
	v_lshl_add_u64 v[10:11], s[0:1], 0, v[2:3]
	;; [unrolled: 1-line block ×3, first 2 shown]
	s_addc_u32 s67, s41, 0
	s_brev_b32 s45, -2
	v_mov_b32_e32 v31, 0x260
	v_mov_b32_e32 v32, 1.0
	s_mov_b32 s71, 0x41dfffff
	s_mov_b32 s38, 0x41200000
	v_mov_b32_e32 v33, 1
	v_mov_b32_e32 v34, 8
	s_mov_b32 s39, 0
	v_cmp_gt_u32_e64 s[4:5], 64, v0
	v_cmp_gt_i32_e64 s[6:7], s44, v0
	s_mov_b64 s[72:73], 0x400
	s_mov_b32 s74, s31
	v_writelane_b32 v48, s23, 21
                                        ; implicit-def: $vgpr35
                                        ; implicit-def: $vgpr38
                                        ; implicit-def: $vgpr37
                                        ; implicit-def: $sgpr77
                                        ; implicit-def: $vgpr36
	v_writelane_b32 v48, s24, 22
	s_branch .LBB1_17
.LBB1_15:                               ;   in Loop: Header=BB1_17 Depth=1
	v_readlane_b32 s0, v48, 12
	v_readlane_b32 s1, v48, 13
	;; [unrolled: 1-line block ×3, first 2 shown]
	s_mov_b32 s39, s20
	v_readlane_b32 s23, v48, 21
	v_readlane_b32 s24, v48, 22
	s_nop 0
	global_load_dword v14, v3, s[0:1] offset:-4
.LBB1_16:                               ;   in Loop: Header=BB1_17 Depth=1
	s_add_i32 s74, s74, 1
	s_waitcnt vmcnt(0)
	v_cmp_ge_i32_e32 vcc, s74, v14
	s_cbranch_vccnz .LBB1_266
.LBB1_17:                               ; =>This Loop Header: Depth=1
                                        ;     Child Loop BB1_22 Depth 2
                                        ;     Child Loop BB1_26 Depth 2
                                        ;       Child Loop BB1_36 Depth 3
                                        ;       Child Loop BB1_39 Depth 3
	;; [unrolled: 1-line block ×5, first 2 shown]
                                        ;         Child Loop BB1_109 Depth 4
                                        ;         Child Loop BB1_115 Depth 4
	;; [unrolled: 1-line block ×5, first 2 shown]
                                        ;           Child Loop BB1_135 Depth 5
                                        ;         Child Loop BB1_153 Depth 4
                                        ;           Child Loop BB1_154 Depth 5
                                        ;           Child Loop BB1_156 Depth 5
                                        ;         Child Loop BB1_161 Depth 4
                                        ;       Child Loop BB1_202 Depth 3
                                        ;       Child Loop BB1_239 Depth 3
	;; [unrolled: 1-line block ×5, first 2 shown]
	s_mov_b32 s76, 0
	s_cmp_eq_u32 s74, 0
	s_mov_b64 s[0:1], 0
	s_cbranch_scc1 .LBB1_19
; %bb.18:                               ;   in Loop: Header=BB1_17 Depth=1
	s_mov_b32 s75, s31
	s_lshl_b64 s[0:1], s[74:75], 2
	s_add_u32 s0, s91, s0
	s_addc_u32 s1, s24, s1
	global_load_dword v2, v3, s[0:1] offset:-4
	s_mov_b64 s[0:1], s[74:75]
	s_waitcnt vmcnt(0)
	v_readfirstlane_b32 s76, v2
.LBB1_19:                               ;   in Loop: Header=BB1_17 Depth=1
	s_lshl_b64 s[0:1], s[0:1], 2
	s_add_u32 s0, s91, s0
	s_addc_u32 s1, s24, s1
	global_load_dword v2, v3, s[0:1]
	s_not_b32 s0, s76
	s_waitcnt vmcnt(0)
	v_readfirstlane_b32 s78, v2
	s_add_i32 s80, s0, s78
	s_sub_i32 s75, s78, s76
	s_cmp_lt_i32 s80, 1
	s_cselect_b64 s[82:83], -1, 0
	s_and_b64 vcc, exec, s[82:83]
	s_cbranch_vccnz .LBB1_24
; %bb.20:                               ;   in Loop: Header=BB1_17 Depth=1
	s_ashr_i32 s77, s76, 31
	s_lshl_b64 s[0:1], s[76:77], 2
	s_add_u32 s8, s36, s0
	s_addc_u32 s9, s37, s1
	s_add_u32 s12, s22, s0
	s_addc_u32 s13, s23, s1
	s_ashr_i32 s79, s78, 31
	s_lshl_b64 s[14:15], s[78:79], 2
	s_add_u32 s16, s36, s14
	s_addc_u32 s17, s37, s15
	s_add_i32 s10, s78, -2
	s_add_u32 s14, s22, s14
	s_addc_u32 s15, s23, s15
	global_load_dword v15, v3, s[8:9]
	global_load_dword v2, v3, s[12:13]
	global_load_dword v17, v3, s[16:17] offset:-4
	global_load_dword v19, v3, s[14:15] offset:-8
	s_cmp_ge_i32 s76, s10
	s_waitcnt vmcnt(3)
	v_and_b32_e32 v16, 0x7fffffff, v15
	s_waitcnt vmcnt(2)
	v_and_b32_e32 v18, 0x7fffffff, v2
	;; [unrolled: 2-line block ×4, first 2 shown]
	v_pk_add_f32 v[16:17], v[16:17], v[18:19]
	s_nop 0
	v_cmp_lt_f32_e32 vcc, v16, v17
	s_nop 1
	v_cndmask_b32_e32 v36, v16, v17, vcc
	s_cbranch_scc1 .LBB1_23
; %bb.21:                               ;   in Loop: Header=BB1_17 Depth=1
	v_readlane_b32 s8, v48, 16
	s_add_u32 s8, s8, s0
	v_readlane_b32 s9, v48, 17
	s_addc_u32 s9, s9, s1
	v_readlane_b32 s11, v48, 18
	s_add_u32 s0, s11, s0
	v_readlane_b32 s11, v48, 19
	s_addc_u32 s1, s11, s1
	s_mov_b32 s11, s76
.LBB1_22:                               ;   Parent Loop BB1_17 Depth=1
                                        ; =>  This Inner Loop Header: Depth=2
	global_load_dword v15, v3, s[0:1]
	s_add_i32 s11, s11, 1
	s_waitcnt vmcnt(0)
	v_add_f32_e64 v15, |v2|, |v15|
	global_load_dword v2, v3, s[8:9]
	s_add_u32 s8, s8, 4
	s_addc_u32 s9, s9, 0
	s_add_u32 s0, s0, 4
	s_addc_u32 s1, s1, 0
	s_cmp_lt_i32 s11, s10
	s_waitcnt vmcnt(0)
	v_add_f32_e64 v15, v15, |v2|
	v_cmp_lt_f32_e32 vcc, v36, v15
	s_nop 1
	v_cndmask_b32_e32 v36, v36, v15, vcc
	s_cbranch_scc1 .LBB1_22
.LBB1_23:                               ;   in Loop: Header=BB1_17 Depth=1
	s_mov_b32 s8, 0x9999999a
	v_cvt_f64_u32_e32 v[16:17], s75
	s_mov_b32 s9, 0x3fb99999
	v_div_scale_f64 v[18:19], s[0:1], v[16:17], v[16:17], s[8:9]
	v_rcp_f64_e32 v[20:21], v[18:19]
	v_div_scale_f64 v[22:23], vcc, s[8:9], v[16:17], s[8:9]
	s_mov_b32 s0, 0
	v_fma_f64 v[24:25], -v[18:19], v[20:21], 1.0
	v_fmac_f64_e32 v[20:21], v[20:21], v[24:25]
	v_fma_f64 v[24:25], -v[18:19], v[20:21], 1.0
	v_fmac_f64_e32 v[20:21], v[20:21], v[24:25]
	v_mul_f64 v[24:25], v[22:23], v[20:21]
	v_fma_f64 v[18:19], -v[18:19], v[24:25], v[22:23]
	v_div_fmas_f64 v[18:19], v[18:19], v[20:21], v[24:25]
	v_div_fixup_f64 v[16:17], v[18:19], v[16:17], s[8:9]
	s_brev_b32 s1, 8
	v_cmp_gt_f64_e32 vcc, s[0:1], v[16:17]
	s_and_b64 s[0:1], vcc, exec
	s_cselect_b32 s0, 0x100, 0
	v_ldexp_f64 v[16:17], v[16:17], s0
	v_rsq_f64_e32 v[18:19], v[16:17]
	s_cselect_b32 s0, 0xffffff80, 0
	v_cmp_class_f64_e32 vcc, v[16:17], v31
	v_mul_f32_e32 v37, 0x3a83126f, v36
	v_mul_f64 v[20:21], v[16:17], v[18:19]
	v_mul_f64 v[18:19], v[18:19], 0.5
	v_fma_f64 v[22:23], -v[18:19], v[20:21], 0.5
	v_fmac_f64_e32 v[20:21], v[20:21], v[22:23]
	v_fma_f64 v[24:25], -v[20:21], v[20:21], v[16:17]
	v_fmac_f64_e32 v[18:19], v[18:19], v[22:23]
	v_fmac_f64_e32 v[20:21], v[24:25], v[18:19]
	v_fma_f64 v[22:23], -v[20:21], v[20:21], v[16:17]
	v_fmac_f64_e32 v[20:21], v[22:23], v[18:19]
	v_ldexp_f64 v[18:19], v[20:21], s0
	v_cndmask_b32_e32 v17, v19, v17, vcc
	v_cndmask_b32_e32 v16, v18, v16, vcc
	v_cvt_f32_f64_e32 v38, v[16:17]
	s_mov_b32 s77, s39
.LBB1_24:                               ;   in Loop: Header=BB1_17 Depth=1
	s_cmp_ge_i32 s39, s26
	s_cbranch_scc1 .LBB1_16
; %bb.25:                               ;   in Loop: Header=BB1_17 Depth=1
	s_ashr_i32 s79, s78, 31
	s_lshl_b64 s[0:1], s[78:79], 2
	s_add_u32 s0, s36, s0
	s_addc_u32 s1, s37, s1
	v_writelane_b32 v48, s0, 23
	v_cvt_f32_u32_e32 v2, s75
	s_mov_b32 s81, s31
	v_writelane_b32 v48, s1, 24
	v_add_u32_e32 v16, s76, v0
	v_readlane_b32 s0, v48, 14
	v_readlane_b32 s1, v48, 15
	s_add_i32 s0, s80, s0
	s_ashr_i32 s1, s0, 31
	s_lshl_b64 s[0:1], s[0:1], 2
	s_add_u32 s86, s40, s0
	s_addc_u32 s87, s41, s1
	s_lshl_b64 s[0:1], s[80:81], 2
	s_add_u32 s88, s42, s0
	s_addc_u32 s89, s43, s1
	s_add_i32 s79, s80, -1
	v_mul_f32_e32 v39, v36, v2
	v_add_u32_e32 v2, s78, v30
	s_add_u32 s0, s54, s0
	v_subrev_u32_e32 v2, s76, v2
	s_addc_u32 s1, s55, s1
	v_lshrrev_b32_e32 v14, 8, v2
	v_writelane_b32 v48, s0, 25
	v_add_u32_e32 v15, 1, v14
	v_ashrrev_i32_e32 v17, 31, v16
	v_writelane_b32 v48, s1, 26
	s_cmp_gt_u32 s75, 2
	s_movk_i32 s0, 0xff
	v_and_b32_e32 v40, 0x1fffffe, v15
	v_lshlrev_b64 v[18:19], 2, v[16:17]
	v_cmp_ge_i32_e64 s[8:9], s80, v0
	v_cmp_gt_i32_e64 s[10:11], s80, v0
	v_cmp_gt_u32_e64 s[12:13], s75, v0
	s_cselect_b64 s[92:93], -1, 0
	v_cmp_lt_u32_e64 s[14:15], s0, v2
	v_lshl_or_b32 v14, v40, 8, v0
	v_cmp_ne_u32_e64 s[16:17], v15, v40
	v_lshl_add_u64 v[16:17], s[36:37], 0, v[18:19]
	v_lshl_add_u64 v[18:19], s[22:23], 0, v[18:19]
	s_mov_b32 s84, 0
	s_sub_i32 s81, 0, s76
	s_mul_i32 s85, s51, s39
	v_mov_b32_e32 v41, s75
	v_mov_b32_e32 v2, v35
	s_mov_b32 s94, s39
.LBB1_26:                               ;   Parent Loop BB1_17 Depth=1
                                        ; =>  This Loop Header: Depth=2
                                        ;       Child Loop BB1_36 Depth 3
                                        ;       Child Loop BB1_39 Depth 3
	;; [unrolled: 1-line block ×5, first 2 shown]
                                        ;         Child Loop BB1_109 Depth 4
                                        ;         Child Loop BB1_115 Depth 4
	;; [unrolled: 1-line block ×5, first 2 shown]
                                        ;           Child Loop BB1_135 Depth 5
                                        ;         Child Loop BB1_153 Depth 4
                                        ;           Child Loop BB1_154 Depth 5
                                        ;           Child Loop BB1_156 Depth 5
                                        ;         Child Loop BB1_161 Depth 4
                                        ;       Child Loop BB1_202 Depth 3
                                        ;       Child Loop BB1_239 Depth 3
	;; [unrolled: 1-line block ×5, first 2 shown]
	s_ashr_i32 s95, s94, 31
	s_lshl_b64 s[20:21], s[94:95], 2
	s_add_u32 s0, s33, s20
	s_addc_u32 s1, s68, s21
	global_load_dword v15, v3, s[0:1]
	s_mov_b64 s[0:1], -1
	s_waitcnt vmcnt(0)
	v_add_u32_e32 v15, -1, v15
	v_cmp_ne_u32_e32 vcc, s74, v15
	s_cbranch_vccnz .LBB1_30
; %bb.27:                               ;   in Loop: Header=BB1_26 Depth=2
	s_add_u32 s0, s27, s20
	s_addc_u32 s1, s69, s21
	global_load_dword v35, v3, s[0:1]
	s_mov_b64 s[0:1], -1
	s_and_b64 vcc, exec, s[82:83]
	s_cbranch_vccnz .LBB1_31
; %bb.28:                               ;   in Loop: Header=BB1_26 Depth=2
	s_and_b64 vcc, exec, s[0:1]
	s_cbranch_vccnz .LBB1_34
.LBB1_29:                               ;   in Loop: Header=BB1_26 Depth=2
	s_and_saveexec_b64 s[20:21], s[6:7]
	s_cbranch_execnz .LBB1_260
	s_branch .LBB1_264
.LBB1_30:                               ;   in Loop: Header=BB1_26 Depth=2
	s_mov_b32 s20, s94
	v_mov_b32_e32 v35, v2
                                        ; implicit-def: $sgpr84
                                        ; implicit-def: $sgpr85
	s_and_b64 vcc, exec, s[0:1]
	s_cbranch_vccz .LBB1_265
	s_branch .LBB1_15
.LBB1_31:                               ;   in Loop: Header=BB1_26 Depth=2
	s_and_saveexec_b64 s[0:1], s[18:19]
	s_cbranch_execz .LBB1_33
; %bb.32:                               ;   in Loop: Header=BB1_26 Depth=2
	global_store_dword v3, v32, s[40:41]
.LBB1_33:                               ;   in Loop: Header=BB1_26 Depth=2
	s_or_b64 exec, exec, s[0:1]
	s_barrier
	s_branch .LBB1_29
.LBB1_34:                               ;   in Loop: Header=BB1_26 Depth=2
	s_and_saveexec_b64 s[0:1], s[8:9]
	s_cbranch_execz .LBB1_37
; %bb.35:                               ;   in Loop: Header=BB1_26 Depth=2
	s_mul_i32 s20, s74, s26
	s_add_i32 s20, s94, s20
	v_lshl_or_b32 v20, s20, 8, v0
	v_sub_u32_e32 v15, 0x7ffffffe, v20
	v_sub_u32_e32 v21, 0xf7, v20
	s_mov_b32 s20, 0x7fffff07
	v_max_u32_e32 v21, 1, v21
	v_cmp_gt_u32_e32 vcc, s20, v15
	s_mov_b32 s20, 0x7ffffffe
	s_nop 0
	v_cndmask_b32_e32 v15, v21, v15, vcc
	v_cmp_ne_u32_e32 vcc, s20, v20
	v_add_u32_e32 v20, 1, v20
	s_mov_b32 s20, 0x40000001
	v_mul_hi_i32 v21, v20, s20
	v_lshrrev_b32_e32 v22, 31, v21
	v_ashrrev_i32_e32 v21, 29, v21
	v_add_u32_e32 v21, v21, v22
	v_mul_lo_u32 v21, v21, s45
	v_sub_u32_e32 v20, v20, v21
	v_cndmask_b32_e32 v15, 1, v15, vcc
	v_max_i32_e32 v23, 1, v20
	s_mov_b64 s[20:21], 0
	v_mov_b64_e32 v[20:21], v[8:9]
	v_mov_b32_e32 v22, v0
.LBB1_36:                               ;   Parent Loop BB1_17 Depth=1
                                        ;     Parent Loop BB1_26 Depth=2
                                        ; =>    This Inner Loop Header: Depth=3
	s_mov_b32 s22, 0x5e4789c9
	s_mov_b32 s23, 0x4f7a09cd
	v_mul_hi_i32 v24, v23, s22
	v_mul_hi_i32 v25, v15, s23
	v_lshrrev_b32_e32 v26, 31, v24
	v_ashrrev_i32_e32 v24, 14, v24
	v_lshrrev_b32_e32 v27, 31, v25
	v_ashrrev_i32_e32 v25, 14, v25
	v_add_u32_e32 v24, v24, v26
	v_add_u32_e32 v25, v25, v27
	v_mul_i32_i24_e32 v26, 0xadc8, v24
	v_mul_i32_i24_e32 v27, 0xce26, v25
	s_mov_b32 s24, 0xbc8f
	s_mov_b32 s25, 0x9ef4
	v_sub_u32_e32 v23, v23, v26
	v_sub_u32_e32 v15, v15, v27
	s_movk_i32 s30, 0xf2b9
	s_movk_i32 s34, 0xf131
	v_mul_lo_u32 v23, v23, s24
	v_mul_lo_u32 v15, v15, s25
	v_mad_i32_i24 v23, v24, s30, v23
	v_mad_i32_i24 v15, v25, s34, v15
	v_ashrrev_i32_e32 v24, 31, v23
	v_ashrrev_i32_e32 v25, 31, v15
	v_and_b32_e32 v24, 0x7fffffff, v24
	v_and_b32_e32 v25, 0x7fffff07, v25
	v_add_u32_e32 v23, v24, v23
	v_add_u32_e32 v15, v25, v15
	v_sub_u32_e32 v24, v23, v15
	v_ashrrev_i32_e32 v25, 31, v24
	v_and_b32_e32 v25, 0x7fffffff, v25
	v_add_u32_e32 v24, v25, v24
	v_cvt_f64_i32_e32 v[24:25], v24
	v_div_scale_f64 v[26:27], s[22:23], s[70:71], s[70:71], v[24:25]
	v_rcp_f64_e32 v[42:43], v[26:27]
	v_add_u32_e32 v22, 0x100, v22
	v_cmp_lt_i32_e32 vcc, s80, v22
	s_or_b64 s[20:21], vcc, s[20:21]
	v_fma_f64 v[46:47], -v[26:27], v[42:43], 1.0
	v_fmac_f64_e32 v[42:43], v[42:43], v[46:47]
	v_fma_f64 v[46:47], -v[26:27], v[42:43], 1.0
	v_div_scale_f64 v[44:45], vcc, v[24:25], s[70:71], v[24:25]
	v_fmac_f64_e32 v[42:43], v[42:43], v[46:47]
	v_mul_f64 v[46:47], v[44:45], v[42:43]
	v_fma_f64 v[26:27], -v[26:27], v[46:47], v[44:45]
	s_nop 0
	v_div_fmas_f64 v[26:27], v[26:27], v[42:43], v[46:47]
	v_div_fixup_f64 v[24:25], v[26:27], s[70:71], v[24:25]
	v_cvt_f32_f64_e32 v24, v[24:25]
	global_store_dword v[20:21], v24, off
	v_lshl_add_u64 v[20:21], v[20:21], 0, s[72:73]
	s_andn2_b64 exec, exec, s[20:21]
	s_cbranch_execnz .LBB1_36
.LBB1_37:                               ;   in Loop: Header=BB1_26 Depth=2
	s_or_b64 exec, exec, s[0:1]
	s_and_saveexec_b64 s[0:1], s[10:11]
	s_cbranch_execz .LBB1_40
; %bb.38:                               ;   in Loop: Header=BB1_26 Depth=2
	s_mov_b64 s[20:21], 0
	v_mov_b64_e32 v[20:21], v[18:19]
	v_mov_b64_e32 v[22:23], v[16:17]
	;; [unrolled: 1-line block ×4, first 2 shown]
	v_mov_b32_e32 v15, v0
.LBB1_39:                               ;   Parent Loop BB1_17 Depth=1
                                        ;     Parent Loop BB1_26 Depth=2
                                        ; =>    This Inner Loop Header: Depth=3
	global_load_dword v42, v[22:23], off
	v_lshl_add_u64 v[22:23], v[22:23], 0, s[72:73]
	s_waitcnt vmcnt(0)
	global_store_dword v[26:27], v42, off
	global_load_dword v44, v[20:21], off
	v_add_u32_e32 v42, s29, v15
	v_add_u32_e32 v15, 0x100, v15
	v_ashrrev_i32_e32 v43, 31, v42
	v_cmp_le_i32_e32 vcc, s80, v15
	v_lshl_add_u64 v[42:43], v[42:43], 2, s[40:41]
	s_or_b64 s[20:21], vcc, s[20:21]
	v_lshl_add_u64 v[26:27], v[26:27], 0, s[72:73]
	v_lshl_add_u64 v[20:21], v[20:21], 0, s[72:73]
	s_waitcnt vmcnt(0)
	global_store_dword v[42:43], v44, off
	global_store_dword v[24:25], v44, off
	v_lshl_add_u64 v[24:25], v[24:25], 0, s[72:73]
	s_andn2_b64 exec, exec, s[20:21]
	s_cbranch_execnz .LBB1_39
.LBB1_40:                               ;   in Loop: Header=BB1_26 Depth=2
	s_or_b64 exec, exec, s[0:1]
	s_and_saveexec_b64 s[0:1], s[18:19]
	s_cbranch_execz .LBB1_42
; %bb.41:                               ;   in Loop: Header=BB1_26 Depth=2
	v_readlane_b32 s20, v48, 23
	v_readlane_b32 s21, v48, 24
	s_nop 4
	global_load_dword v15, v3, s[20:21] offset:-4
	s_waitcnt vmcnt(0)
	global_store_dword v3, v15, s[86:87]
.LBB1_42:                               ;   in Loop: Header=BB1_26 Depth=2
	s_or_b64 exec, exec, s[0:1]
	s_waitcnt vmcnt(0)
	v_mul_f32_e32 v15, s52, v35
	s_cmp_lg_u32 s84, 0
	v_mul_f32_e64 v20, |v15|, s38
	v_sub_f32_e32 v21, v35, v2
	s_cselect_b64 s[96:97], -1, 0
	s_cmp_eq_u32 s84, 0
	v_fma_f32 v15, |v15|, s38, v2
	v_cmp_lt_f32_e32 vcc, v21, v20
	s_barrier
	s_nop 0
	v_cndmask_b32_e32 v15, v35, v15, vcc
	s_cselect_b64 vcc, -1, 0
	v_cndmask_b32_e32 v35, v15, v35, vcc
	s_and_saveexec_b64 s[0:1], s[18:19]
	s_cbranch_execz .LBB1_69
; %bb.43:                               ;   in Loop: Header=BB1_26 Depth=2
	global_load_dword v15, v3, s[54:55]
	s_mov_b64 s[20:21], 0
	s_mov_b32 s30, 1
	global_store_dword v3, v3, s[88:89]
	s_waitcnt vmcnt(1)
	v_sub_f32_e32 v15, v15, v35
	global_store_dword v3, v15, s[54:55]
	global_load_dword v20, v3, s[56:57] offset:4
	s_waitcnt vmcnt(0)
	v_add_f32_e64 v15, |v15|, |v20|
	s_branch .LBB1_45
.LBB1_44:                               ;   in Loop: Header=BB1_45 Depth=3
	s_add_u32 s20, s20, 4
	s_addc_u32 s21, s21, 0
	s_add_i32 s30, s30, 1
	s_cmp_eq_u32 s75, s30
	s_cbranch_scc1 .LBB1_66
.LBB1_45:                               ;   Parent Loop BB1_17 Depth=1
                                        ;     Parent Loop BB1_26 Depth=2
                                        ; =>    This Inner Loop Header: Depth=3
	s_add_i32 s34, s30, -1
	s_add_u32 s22, s54, s20
	s_addc_u32 s23, s55, s21
	global_load_dword v20, v3, s[22:23] offset:4
	s_add_u32 s98, s58, s20
	s_addc_u32 s99, s59, s21
	s_cmp_lt_u32 s34, s79
	s_cselect_b64 s[24:25], -1, 0
	s_cmp_ge_u32 s34, s79
	s_waitcnt vmcnt(0)
	v_sub_f32_e32 v22, v20, v35
	global_store_dword v3, v22, s[22:23] offset:4
	global_load_dword v23, v3, s[98:99]
	s_waitcnt vmcnt(0)
	v_add_f32_e64 v20, |v22|, |v23|
	s_cbranch_scc1 .LBB1_47
; %bb.46:                               ;   in Loop: Header=BB1_45 Depth=3
	s_add_u32 s34, s56, s20
	s_addc_u32 s35, s57, s21
	global_load_dword v21, v3, s[34:35] offset:8
	s_waitcnt vmcnt(0)
	v_add_f32_e64 v20, v20, |v21|
.LBB1_47:                               ;   in Loop: Header=BB1_45 Depth=3
	global_load_dword v24, v3, s[22:23]
	s_waitcnt vmcnt(0)
	v_cmp_eq_f32_e32 vcc, 0, v24
	s_cbranch_vccnz .LBB1_58
; %bb.48:                               ;   in Loop: Header=BB1_45 Depth=3
	v_and_b32_e32 v21, 0x7fffffff, v24
	v_div_scale_f32 v25, s[34:35], v15, v15, v21
	v_rcp_f32_e32 v26, v25
	v_div_scale_f32 v21, vcc, v21, v15, v21
	v_fma_f32 v27, -v25, v26, 1.0
	v_fmac_f32_e32 v26, v27, v26
	v_mul_f32_e32 v27, v21, v26
	v_fma_f32 v42, -v25, v27, v21
	v_fmac_f32_e32 v27, v42, v26
	v_fma_f32 v21, -v25, v27, v21
	v_div_fmas_f32 v21, v21, v26, v27
	v_div_fixup_f32 v21, v21, v15, |v24|
	v_cmp_neq_f32_e32 vcc, 0, v23
	s_cbranch_vccz .LBB1_59
.LBB1_49:                               ;   in Loop: Header=BB1_45 Depth=3
	v_and_b32_e32 v25, 0x7fffffff, v23
	v_div_scale_f32 v26, s[34:35], v20, v20, v25
	v_rcp_f32_e32 v27, v26
	v_div_scale_f32 v25, vcc, v25, v20, v25
	s_add_u32 s48, s42, s20
	v_fma_f32 v42, -v26, v27, 1.0
	v_fmac_f32_e32 v27, v42, v27
	v_mul_f32_e32 v42, v25, v27
	v_fma_f32 v43, -v26, v42, v25
	v_fmac_f32_e32 v42, v43, v27
	v_fma_f32 v25, -v26, v42, v25
	v_div_fmas_f32 v25, v25, v27, v42
	v_div_fixup_f32 v25, v25, v20, |v23|
	v_cmp_nle_f32_e32 vcc, v25, v21
	s_addc_u32 s49, s43, s21
	s_mov_b64 s[34:35], -1
	s_cbranch_vccnz .LBB1_53
; %bb.50:                               ;   in Loop: Header=BB1_45 Depth=3
	v_div_scale_f32 v26, s[34:35], v24, v24, v23
	v_rcp_f32_e32 v27, v26
	v_div_scale_f32 v42, vcc, v23, v24, v23
	s_add_u32 s34, s56, s20
	v_fma_f32 v43, -v26, v27, 1.0
	v_fmac_f32_e32 v27, v43, v27
	v_mul_f32_e32 v43, v42, v27
	v_fma_f32 v44, -v26, v43, v42
	v_fmac_f32_e32 v43, v44, v27
	v_fma_f32 v26, -v26, v43, v42
	v_div_fmas_f32 v26, v26, v27, v43
	v_div_fixup_f32 v26, v26, v24, v23
	global_store_dword v3, v26, s[98:99]
	s_addc_u32 s35, s57, s21
	global_load_dword v27, v3, s[22:23] offset:4
	global_load_dword v42, v3, s[34:35] offset:4
	s_andn2_b64 vcc, exec, s[24:25]
	global_store_dword v3, v3, s[48:49]
	s_waitcnt vmcnt(1)
	v_fma_f32 v26, -v26, v42, v27
	global_store_dword v3, v26, s[22:23] offset:4
	s_cbranch_vccnz .LBB1_52
; %bb.51:                               ;   in Loop: Header=BB1_45 Depth=3
	s_add_u32 s34, s60, s20
	s_addc_u32 s35, s61, s21
	global_store_dword v3, v3, s[34:35]
.LBB1_52:                               ;   in Loop: Header=BB1_45 Depth=3
	s_mov_b64 s[34:35], 0
.LBB1_53:                               ;   in Loop: Header=BB1_45 Depth=3
	s_andn2_b64 vcc, exec, s[34:35]
	v_mov_b32_e32 v26, v20
	s_cbranch_vccnz .LBB1_57
; %bb.54:                               ;   in Loop: Header=BB1_45 Depth=3
	s_add_u32 s34, s56, s20
	global_store_dword v3, v23, s[22:23]
	s_addc_u32 s35, s57, s21
	global_load_dword v26, v3, s[34:35] offset:4
	v_div_scale_f32 v43, vcc, v24, v23, v24
	global_store_dword v3, v33, s[48:49]
	v_div_scale_f32 v27, s[48:49], v23, v23, v24
	v_rcp_f32_e32 v42, v27
	s_nop 0
	v_fma_f32 v44, -v27, v42, 1.0
	v_fmac_f32_e32 v42, v44, v42
	v_mul_f32_e32 v44, v43, v42
	v_fma_f32 v45, -v27, v44, v43
	v_fmac_f32_e32 v44, v45, v42
	v_fma_f32 v27, -v27, v44, v43
	v_div_fmas_f32 v27, v27, v42, v44
	v_div_fixup_f32 v23, v27, v23, v24
	s_andn2_b64 vcc, exec, s[24:25]
	s_waitcnt vmcnt(1)
	v_fma_f32 v24, -v22, v23, v26
	global_store_dword v3, v24, s[22:23] offset:4
	s_cbranch_vccnz .LBB1_56
; %bb.55:                               ;   in Loop: Header=BB1_45 Depth=3
	global_load_dword v24, v3, s[34:35] offset:8
	s_add_u32 s22, s60, s20
	s_addc_u32 s23, s61, s21
	s_waitcnt vmcnt(0)
	global_store_dword v3, v24, s[22:23]
	v_mul_f32_e64 v24, v24, -v23
	global_store_dword v3, v24, s[34:35] offset:8
.LBB1_56:                               ;   in Loop: Header=BB1_45 Depth=3
	v_mov_b32_e32 v26, v15
	global_store_dword v3, v22, s[34:35] offset:4
	global_store_dword v3, v23, s[98:99]
.LBB1_57:                               ;   in Loop: Header=BB1_45 Depth=3
	v_mov_b32_e32 v15, v26
	s_cbranch_execz .LBB1_60
	s_branch .LBB1_63
.LBB1_58:                               ;   in Loop: Header=BB1_45 Depth=3
	v_mov_b32_e32 v21, 0
	v_cmp_neq_f32_e32 vcc, 0, v23
	s_cbranch_vccnz .LBB1_49
.LBB1_59:                               ;   in Loop: Header=BB1_45 Depth=3
                                        ; implicit-def: $vgpr25
                                        ; implicit-def: $vgpr15
.LBB1_60:                               ;   in Loop: Header=BB1_45 Depth=3
	s_add_u32 s22, s42, s20
	s_addc_u32 s23, s43, s21
	s_andn2_b64 vcc, exec, s[24:25]
	global_store_dword v3, v3, s[22:23]
	s_cbranch_vccnz .LBB1_62
; %bb.61:                               ;   in Loop: Header=BB1_45 Depth=3
	s_add_u32 s22, s60, s20
	s_addc_u32 s23, s61, s21
	global_store_dword v3, v3, s[22:23]
.LBB1_62:                               ;   in Loop: Header=BB1_45 Depth=3
	v_mov_b32_e32 v25, 0
	v_mov_b32_e32 v15, v20
.LBB1_63:                               ;   in Loop: Header=BB1_45 Depth=3
	v_max_f32_e32 v20, v25, v25
	v_max_f32_e32 v21, v21, v21
	;; [unrolled: 1-line block ×3, first 2 shown]
	v_cmp_nle_f32_e32 vcc, v20, v28
	s_cbranch_vccnz .LBB1_44
; %bb.64:                               ;   in Loop: Header=BB1_45 Depth=3
	global_load_dword v20, v3, s[88:89]
	s_waitcnt vmcnt(0)
	v_cmp_ne_u32_e32 vcc, 0, v20
	s_cbranch_vccnz .LBB1_44
; %bb.65:                               ;   in Loop: Header=BB1_45 Depth=3
	v_mov_b32_e32 v20, s30
	global_store_dword v3, v20, s[88:89]
	s_branch .LBB1_44
.LBB1_66:                               ;   in Loop: Header=BB1_26 Depth=2
	v_readlane_b32 s20, v48, 25
	v_readlane_b32 s21, v48, 26
	v_mul_f32_e32 v15, v28, v15
	s_nop 3
	global_load_dword v20, v3, s[20:21]
	s_waitcnt vmcnt(0)
	v_cmp_le_f32_e64 s[20:21], |v20|, v15
	s_and_b64 vcc, exec, s[20:21]
	s_cbranch_vccz .LBB1_69
; %bb.67:                               ;   in Loop: Header=BB1_26 Depth=2
	global_load_dword v15, v3, s[88:89]
	s_waitcnt vmcnt(0)
	v_cmp_ne_u32_e32 vcc, 0, v15
	s_cbranch_vccnz .LBB1_69
; %bb.68:                               ;   in Loop: Header=BB1_26 Depth=2
	global_store_dword v3, v41, s[88:89]
.LBB1_69:                               ;   in Loop: Header=BB1_26 Depth=2
	s_or_b64 exec, exec, s[0:1]
	v_sub_f32_e32 v2, v35, v2
	v_cmp_gt_f32_e64 s[98:99], |v2|, v37
	s_mov_b32 s95, 0
	s_mov_b32 s90, 0
	v_mov_b32_e32 v2, 0
	v_bfrev_b32_e32 v15, -2
	s_and_saveexec_b64 s[20:21], s[12:13]
	s_cbranch_execz .LBB1_73
.LBB1_70:                               ;   in Loop: Header=BB1_26 Depth=2
	v_mov_b32_e32 v2, 0
	v_bfrev_b32_e32 v15, -2
	s_mov_b64 s[22:23], 0
	v_mov_b64_e32 v[20:21], v[8:9]
	v_mov_b32_e32 v22, v0
.LBB1_71:                               ;   Parent Loop BB1_17 Depth=1
                                        ;     Parent Loop BB1_26 Depth=2
                                        ; =>    This Inner Loop Header: Depth=3
	global_load_dword v23, v[20:21], off
	v_cmp_eq_u32_e32 vcc, s45, v15
	v_add_u32_e32 v24, 1, v22
	v_add_u32_e32 v22, 0x100, v22
	v_cmp_le_u32_e64 s[0:1], s75, v22
	v_lshl_add_u64 v[20:21], v[20:21], 0, s[72:73]
	s_waitcnt vmcnt(0)
	v_cmp_lt_f32_e64 s[24:25], v2, |v23|
	s_or_b64 vcc, s[24:25], vcc
	v_cndmask_b32_e64 v2, v2, |v23|, vcc
	s_or_b64 s[22:23], s[0:1], s[22:23]
	v_cndmask_b32_e32 v15, v15, v24, vcc
	s_andn2_b64 exec, exec, s[22:23]
	s_cbranch_execnz .LBB1_71
; %bb.72:                               ;   in Loop: Header=BB1_26 Depth=2
	s_or_b64 exec, exec, s[22:23]
.LBB1_73:                               ;   Parent Loop BB1_17 Depth=1
                                        ;     Parent Loop BB1_26 Depth=2
                                        ; =>    This Loop Header: Depth=3
                                        ;         Child Loop BB1_109 Depth 4
                                        ;         Child Loop BB1_115 Depth 4
	;; [unrolled: 1-line block ×5, first 2 shown]
                                        ;           Child Loop BB1_135 Depth 5
                                        ;         Child Loop BB1_153 Depth 4
                                        ;           Child Loop BB1_154 Depth 5
                                        ;           Child Loop BB1_156 Depth 5
                                        ;         Child Loop BB1_161 Depth 4
	s_or_b64 exec, exec, s[20:21]
	ds_write2st64_b32 v29, v2, v15 offset1:8
	s_waitcnt lgkmcnt(0)
	s_barrier
	s_and_saveexec_b64 s[20:21], s[2:3]
	s_cbranch_execz .LBB1_79
; %bb.74:                               ;   in Loop: Header=BB1_73 Depth=3
	ds_read2st64_b32 v[20:21], v29 offset0:2 offset1:10
	s_waitcnt lgkmcnt(0)
	v_cmp_lt_f32_e64 s[22:23], v2, v20
	v_cmp_nlt_f32_e32 vcc, v2, v20
	s_and_saveexec_b64 s[24:25], vcc
; %bb.75:                               ;   in Loop: Header=BB1_73 Depth=3
	v_cmp_eq_f32_e32 vcc, v2, v20
	v_cmp_gt_i32_e64 s[0:1], v15, v21
	s_and_b64 s[0:1], vcc, s[0:1]
	s_andn2_b64 s[22:23], s[22:23], exec
	s_and_b64 s[0:1], s[0:1], exec
	s_or_b64 s[22:23], s[22:23], s[0:1]
; %bb.76:                               ;   in Loop: Header=BB1_73 Depth=3
	s_or_b64 exec, exec, s[24:25]
	s_and_saveexec_b64 s[0:1], s[22:23]
; %bb.77:                               ;   in Loop: Header=BB1_73 Depth=3
	v_mov_b32_e32 v15, v21
	v_mov_b32_e32 v2, v20
	ds_write2st64_b32 v29, v20, v21 offset1:8
; %bb.78:                               ;   in Loop: Header=BB1_73 Depth=3
	s_or_b64 exec, exec, s[0:1]
.LBB1_79:                               ;   in Loop: Header=BB1_73 Depth=3
	s_or_b64 exec, exec, s[20:21]
	s_waitcnt lgkmcnt(0)
	s_barrier
	s_and_saveexec_b64 s[24:25], s[4:5]
	s_cbranch_execz .LBB1_106
; %bb.80:                               ;   in Loop: Header=BB1_73 Depth=3
	ds_read2st64_b32 v[20:21], v29 offset0:1 offset1:9
	s_waitcnt lgkmcnt(0)
	v_cmp_lt_f32_e64 s[20:21], v2, v20
	v_cmp_nlt_f32_e32 vcc, v2, v20
	s_and_saveexec_b64 s[22:23], vcc
; %bb.81:                               ;   in Loop: Header=BB1_73 Depth=3
	v_cmp_eq_f32_e32 vcc, v2, v20
	v_cmp_gt_i32_e64 s[0:1], v15, v21
	s_and_b64 s[0:1], vcc, s[0:1]
	s_andn2_b64 s[20:21], s[20:21], exec
	s_and_b64 s[0:1], s[0:1], exec
	s_or_b64 s[20:21], s[20:21], s[0:1]
; %bb.82:                               ;   in Loop: Header=BB1_73 Depth=3
	s_or_b64 exec, exec, s[22:23]
	s_and_saveexec_b64 s[0:1], s[20:21]
; %bb.83:                               ;   in Loop: Header=BB1_73 Depth=3
	v_mov_b32_e32 v2, v20
	v_mov_b32_e32 v15, v21
	ds_write2st64_b32 v29, v20, v21 offset1:8
; %bb.84:                               ;   in Loop: Header=BB1_73 Depth=3
	s_or_b64 exec, exec, s[0:1]
	v_add_u32_e32 v20, 0x80, v29
	ds_read2st64_b32 v[20:21], v20 offset1:8
	s_waitcnt lgkmcnt(0)
	v_cmp_lt_f32_e64 s[20:21], v2, v20
	v_cmp_nlt_f32_e32 vcc, v2, v20
	s_and_saveexec_b64 s[22:23], vcc
; %bb.85:                               ;   in Loop: Header=BB1_73 Depth=3
	v_cmp_eq_f32_e32 vcc, v2, v20
	v_cmp_gt_i32_e64 s[0:1], v15, v21
	s_and_b64 s[0:1], vcc, s[0:1]
	s_andn2_b64 s[20:21], s[20:21], exec
	s_and_b64 s[0:1], s[0:1], exec
	s_or_b64 s[20:21], s[20:21], s[0:1]
; %bb.86:                               ;   in Loop: Header=BB1_73 Depth=3
	s_or_b64 exec, exec, s[22:23]
	s_and_saveexec_b64 s[0:1], s[20:21]
; %bb.87:                               ;   in Loop: Header=BB1_73 Depth=3
	v_mov_b32_e32 v2, v20
	v_mov_b32_e32 v15, v21
	ds_write2st64_b32 v29, v20, v21 offset1:8
; %bb.88:                               ;   in Loop: Header=BB1_73 Depth=3
	s_or_b64 exec, exec, s[0:1]
	v_add_u32_e32 v20, 64, v29
	ds_read2st64_b32 v[20:21], v20 offset1:8
	;; [unrolled: 22-line block ×4, first 2 shown]
	s_waitcnt lgkmcnt(0)
	v_cmp_lt_f32_e64 s[20:21], v2, v20
	v_cmp_nlt_f32_e32 vcc, v2, v20
	s_and_saveexec_b64 s[22:23], vcc
; %bb.97:                               ;   in Loop: Header=BB1_73 Depth=3
	v_cmp_eq_f32_e32 vcc, v2, v20
	v_cmp_gt_i32_e64 s[0:1], v15, v21
	s_and_b64 s[0:1], vcc, s[0:1]
	s_andn2_b64 s[20:21], s[20:21], exec
	s_and_b64 s[0:1], s[0:1], exec
	s_or_b64 s[20:21], s[20:21], s[0:1]
; %bb.98:                               ;   in Loop: Header=BB1_73 Depth=3
	s_or_b64 exec, exec, s[22:23]
	s_and_saveexec_b64 s[0:1], s[20:21]
; %bb.99:                               ;   in Loop: Header=BB1_73 Depth=3
	v_mov_b32_e32 v2, v20
	v_mov_b32_e32 v15, v21
	ds_write2st64_b32 v29, v20, v21 offset1:8
; %bb.100:                              ;   in Loop: Header=BB1_73 Depth=3
	s_or_b64 exec, exec, s[0:1]
	v_add_u32_e32 v20, 8, v29
	ds_read2st64_b32 v[20:21], v20 offset1:8
	s_waitcnt lgkmcnt(0)
	v_cmp_lt_f32_e64 s[20:21], v2, v20
	v_cmp_nlt_f32_e32 vcc, v2, v20
	s_and_saveexec_b64 s[22:23], vcc
; %bb.101:                              ;   in Loop: Header=BB1_73 Depth=3
	v_cmp_eq_f32_e32 vcc, v2, v20
	v_cmp_gt_i32_e64 s[0:1], v15, v21
	s_and_b64 s[0:1], vcc, s[0:1]
	s_andn2_b64 s[20:21], s[20:21], exec
	s_and_b64 s[0:1], s[0:1], exec
	s_or_b64 s[20:21], s[20:21], s[0:1]
; %bb.102:                              ;   in Loop: Header=BB1_73 Depth=3
	s_or_b64 exec, exec, s[22:23]
	s_and_saveexec_b64 s[0:1], s[20:21]
; %bb.103:                              ;   in Loop: Header=BB1_73 Depth=3
	v_mov_b32_e32 v2, v20
	v_mov_b32_e32 v15, v21
	ds_write2st64_b32 v29, v20, v21 offset1:8
; %bb.104:                              ;   in Loop: Header=BB1_73 Depth=3
	s_or_b64 exec, exec, s[0:1]
	v_add_u32_e32 v20, 4, v29
	ds_read2st64_b32 v[20:21], v20 offset1:8
	s_waitcnt lgkmcnt(0)
	v_cmp_eq_f32_e64 s[0:1], v2, v20
	v_cmp_gt_i32_e64 s[20:21], v15, v21
	v_cmp_lt_f32_e32 vcc, v2, v20
	s_and_b64 s[0:1], s[0:1], s[20:21]
	s_or_b64 s[0:1], vcc, s[0:1]
	s_and_b64 exec, exec, s[0:1]
; %bb.105:                              ;   in Loop: Header=BB1_73 Depth=3
	ds_write2st64_b32 v29, v20, v21 offset1:8
.LBB1_106:                              ;   in Loop: Header=BB1_73 Depth=3
	s_or_b64 exec, exec, s[24:25]
	s_waitcnt lgkmcnt(0)
	s_barrier
	s_and_saveexec_b64 s[0:1], s[8:9]
	s_cbranch_execz .LBB1_116
; %bb.107:                              ;   in Loop: Header=BB1_73 Depth=3
	global_load_dword v2, v3, s[86:87]
	ds_read_b32 v20, v34
	v_mov_b32_e32 v15, s52
	s_mov_b64 s[22:23], -1
	s_waitcnt vmcnt(0)
	v_cmp_lt_f32_e64 s[20:21], s52, |v2|
	s_nop 1
	v_cndmask_b32_e64 v2, v15, |v2|, s[20:21]
	v_mul_f32_e32 v15, v39, v2
	s_waitcnt lgkmcnt(0)
	v_div_scale_f32 v21, s[20:21], v20, v20, v15
	v_rcp_f32_e32 v22, v21
	v_div_scale_f32 v23, vcc, v15, v20, v15
	v_mov_b32_e32 v2, v0
	v_fma_f32 v24, -v21, v22, 1.0
	v_fmac_f32_e32 v22, v24, v22
	v_mul_f32_e32 v24, v23, v22
	v_fma_f32 v25, -v21, v24, v23
	v_fmac_f32_e32 v24, v25, v22
	v_fma_f32 v21, -v21, v24, v23
	v_div_fmas_f32 v21, v21, v22, v24
	v_div_fixup_f32 v20, v21, v20, v15
	v_mov_b64_e32 v[22:23], v[6:7]
	s_and_saveexec_b64 s[20:21], s[14:15]
	s_cbranch_execz .LBB1_113
; %bb.108:                              ;   in Loop: Header=BB1_73 Depth=3
	v_mov_b32_e32 v21, v20
	s_mov_b64 s[22:23], 0
	v_mov_b32_e32 v15, v40
	v_mov_b64_e32 v[22:23], v[0:1]
.LBB1_109:                              ;   Parent Loop BB1_17 Depth=1
                                        ;     Parent Loop BB1_26 Depth=2
                                        ;       Parent Loop BB1_73 Depth=3
                                        ; =>      This Inner Loop Header: Depth=4
	v_mov_b32_e32 v2, v22
	v_lshl_add_u64 v[24:25], v[2:3], 2, s[40:41]
	v_mov_b32_e32 v2, v23
	v_lshl_add_u64 v[26:27], v[2:3], 2, s[40:41]
	global_load_dword v42, v[24:25], off
	global_load_dword v43, v[26:27], off
	v_add_u32_e32 v15, -2, v15
	v_cmp_eq_u32_e32 vcc, 0, v15
	v_add_u32_e32 v22, 0x200, v22
	v_add_u32_e32 v23, 0x200, v23
	s_or_b64 s[22:23], vcc, s[22:23]
	s_waitcnt vmcnt(0)
	v_pk_mul_f32 v[42:43], v[20:21], v[42:43]
	global_store_dword v[24:25], v42, off
	global_store_dword v[26:27], v43, off
	s_andn2_b64 exec, exec, s[22:23]
	s_cbranch_execnz .LBB1_109
; %bb.110:                              ;   in Loop: Header=BB1_73 Depth=3
	s_or_b64 exec, exec, s[22:23]
	s_mov_b64 s[22:23], 0
                                        ; implicit-def: $vgpr22_vgpr23
	s_and_saveexec_b64 s[24:25], s[16:17]
; %bb.111:                              ;   in Loop: Header=BB1_73 Depth=3
	v_mov_b32_e32 v15, v3
	s_mov_b64 s[22:23], exec
	v_lshlrev_b64 v[22:23], 2, v[14:15]
; %bb.112:                              ;   in Loop: Header=BB1_73 Depth=3
	s_or_b64 exec, exec, s[24:25]
	s_orn2_b64 s[22:23], s[22:23], exec
	v_mov_b32_e32 v2, v14
.LBB1_113:                              ;   in Loop: Header=BB1_73 Depth=3
	s_or_b64 exec, exec, s[20:21]
	s_and_b64 exec, exec, s[22:23]
	s_cbranch_execz .LBB1_116
; %bb.114:                              ;   in Loop: Header=BB1_73 Depth=3
	v_lshl_add_u64 v[22:23], s[40:41], 0, v[22:23]
	s_mov_b64 s[20:21], 0
.LBB1_115:                              ;   Parent Loop BB1_17 Depth=1
                                        ;     Parent Loop BB1_26 Depth=2
                                        ;       Parent Loop BB1_73 Depth=3
                                        ; =>      This Inner Loop Header: Depth=4
	global_load_dword v15, v[22:23], off
	v_add_u32_e32 v2, 0x100, v2
	v_cmp_lt_i32_e32 vcc, s80, v2
	s_or_b64 s[20:21], vcc, s[20:21]
	s_waitcnt vmcnt(0)
	v_mul_f32_e32 v15, v20, v15
	global_store_dword v[22:23], v15, off
	v_lshl_add_u64 v[22:23], v[22:23], 0, s[72:73]
	s_andn2_b64 exec, exec, s[20:21]
	s_cbranch_execnz .LBB1_115
.LBB1_116:                              ;   in Loop: Header=BB1_73 Depth=3
	s_or_b64 exec, exec, s[0:1]
	s_barrier
	s_and_saveexec_b64 s[20:21], s[18:19]
	s_cbranch_execz .LBB1_149
; %bb.117:                              ;   in Loop: Header=BB1_73 Depth=3
	global_load_dwordx2 v[20:21], v3, s[54:55]
	global_load_dword v2, v3, s[56:57] offset:4
	s_mov_b64 s[0:1], s[60:61]
	s_mov_b64 s[22:23], s[64:65]
	s_andn2_b64 vcc, exec, s[92:93]
	s_mov_b32 s24, s79
	s_waitcnt vmcnt(0)
	v_max3_f32 v2, |v20|, |v21|, |v2|
	s_cbranch_vccnz .LBB1_119
.LBB1_118:                              ;   Parent Loop BB1_17 Depth=1
                                        ;     Parent Loop BB1_26 Depth=2
                                        ;       Parent Loop BB1_73 Depth=3
                                        ; =>      This Inner Loop Header: Depth=4
	s_add_u32 s34, s22, s50
	s_addc_u32 s35, s23, s28
	global_load_dword v15, v3, s[0:1]
	global_load_dword v20, v3, s[22:23]
	global_load_dword v21, v3, s[34:35]
	s_add_i32 s24, s24, -1
	s_add_u32 s22, s22, 4
	s_addc_u32 s23, s23, 0
	s_add_u32 s0, s0, 4
	s_addc_u32 s1, s1, 0
	s_cmp_lg_u32 s24, 0
	s_waitcnt vmcnt(2)
	v_max_f32_e64 v15, |v15|, |v15|
	s_waitcnt vmcnt(0)
	v_max_f32_e64 v21, |v21|, |v21|
	v_max_f32_e32 v15, v21, v15
	v_max3_f32 v2, v2, |v20|, v15
	s_cbranch_scc1 .LBB1_118
.LBB1_119:                              ;   in Loop: Header=BB1_73 Depth=3
	s_mov_b32 s30, s80
	s_mov_b64 s[0:1], s[42:43]
	s_mov_b64 s[22:23], s[58:59]
	;; [unrolled: 1-line block ×3, first 2 shown]
	s_branch .LBB1_121
.LBB1_120:                              ;   in Loop: Header=BB1_121 Depth=4
	s_add_u32 s24, s24, 4
	s_addc_u32 s25, s25, 0
	s_add_u32 s22, s22, 4
	s_addc_u32 s23, s23, 0
	;; [unrolled: 2-line block ×3, first 2 shown]
	s_add_i32 s30, s30, -1
	s_cmp_lg_u32 s30, 0
	s_cbranch_scc0 .LBB1_125
.LBB1_121:                              ;   Parent Loop BB1_17 Depth=1
                                        ;     Parent Loop BB1_26 Depth=2
                                        ;       Parent Loop BB1_73 Depth=3
                                        ; =>      This Inner Loop Header: Depth=4
	global_load_dword v15, v3, s[0:1]
	s_waitcnt vmcnt(0)
	v_cmp_ne_u32_e32 vcc, 0, v15
	s_cbranch_vccz .LBB1_123
; %bb.122:                              ;   in Loop: Header=BB1_121 Depth=4
	global_load_dwordx2 v[20:21], v3, s[24:25] offset:-4
	s_waitcnt vmcnt(0)
	global_store_dword v3, v21, s[24:25] offset:-4
	global_load_dword v15, v3, s[22:23]
	s_waitcnt vmcnt(0)
	v_fma_f32 v15, -v21, v15, v20
	global_store_dword v3, v15, s[24:25]
	s_cbranch_execnz .LBB1_120
	s_branch .LBB1_124
.LBB1_123:                              ;   in Loop: Header=BB1_121 Depth=4
.LBB1_124:                              ;   in Loop: Header=BB1_121 Depth=4
	global_load_dwordx2 v[20:21], v3, s[24:25] offset:-4
	global_load_dword v15, v3, s[22:23]
	s_waitcnt vmcnt(0)
	v_fma_f32 v15, -v15, v20, v21
	global_store_dword v3, v15, s[24:25]
	s_branch .LBB1_120
.LBB1_125:                              ;   in Loop: Header=BB1_73 Depth=3
	v_mul_f32_e32 v2, s52, v2
	v_mov_b32_e32 v15, s52
	v_cmp_eq_f32_e32 vcc, 0, v2
	s_mov_b32 s30, s80
	s_nop 0
	v_cndmask_b32_e32 v2, v2, v15, vcc
	v_and_b32_e32 v15, 0x7fffffff, v2
	s_branch .LBB1_128
.LBB1_126:                              ;   in Loop: Header=BB1_128 Depth=4
	v_mov_b32_e32 v20, v22
.LBB1_127:                              ;   in Loop: Header=BB1_128 Depth=4
	v_div_scale_f32 v21, s[0:1], v23, v23, v20
	v_rcp_f32_e32 v22, v21
	v_div_scale_f32 v24, vcc, v20, v23, v20
	s_add_i32 s0, s30, -1
	v_fma_f32 v25, -v21, v22, 1.0
	v_fmac_f32_e32 v22, v25, v22
	v_mul_f32_e32 v25, v24, v22
	v_fma_f32 v26, -v21, v25, v24
	v_fmac_f32_e32 v25, v26, v22
	v_fma_f32 v21, -v21, v25, v24
	v_div_fmas_f32 v21, v21, v22, v25
	v_div_fixup_f32 v20, v21, v23, v20
	s_cmp_gt_i32 s30, 0
	s_mov_b32 s30, s0
	global_store_dword v3, v20, s[24:25]
	s_cbranch_scc0 .LBB1_149
.LBB1_128:                              ;   Parent Loop BB1_17 Depth=1
                                        ;     Parent Loop BB1_26 Depth=2
                                        ;       Parent Loop BB1_73 Depth=3
                                        ; =>      This Loop Header: Depth=4
                                        ;           Child Loop BB1_135 Depth 5
	s_lshl_b64 s[0:1], s[30:31], 2
	s_add_u32 s24, s40, s0
	s_addc_u32 s25, s41, s1
	global_load_dword v20, v3, s[24:25]
	s_cmp_ge_i32 s30, s80
	s_cbranch_scc1 .LBB1_130
; %bb.129:                              ;   in Loop: Header=BB1_128 Depth=4
	s_add_u32 s22, s56, s0
	s_addc_u32 s23, s57, s1
	global_load_dword v21, v3, s[22:23] offset:4
	global_load_dword v22, v3, s[24:25] offset:4
	s_waitcnt vmcnt(0)
	v_fma_f32 v20, -v21, v22, v20
.LBB1_130:                              ;   in Loop: Header=BB1_128 Depth=4
	s_cmp_ge_i32 s30, s79
	s_cbranch_scc1 .LBB1_132
; %bb.131:                              ;   in Loop: Header=BB1_128 Depth=4
	s_add_u32 s22, s60, s0
	s_addc_u32 s23, s61, s1
	global_load_dword v21, v3, s[22:23]
	global_load_dword v22, v3, s[24:25] offset:8
	s_waitcnt vmcnt(0)
	v_fma_f32 v20, -v21, v22, v20
.LBB1_132:                              ;   in Loop: Header=BB1_128 Depth=4
	s_add_u32 s0, s54, s0
	s_addc_u32 s1, s55, s1
	global_load_dword v23, v3, s[0:1]
	s_waitcnt vmcnt(0)
	v_cmp_nlt_f32_e64 s[0:1], |v23|, 1.0
	s_and_b64 vcc, exec, s[0:1]
	s_cbranch_vccnz .LBB1_127
; %bb.133:                              ;   in Loop: Header=BB1_128 Depth=4
	v_cmp_nle_f32_e32 vcc, 0, v23
	v_and_b32_e32 v25, 0x7fffffff, v23
	v_mul_f32_e64 v22, s53, |v20|
	v_cndmask_b32_e64 v24, |v2|, -v15, vcc
	s_branch .LBB1_135
.LBB1_134:                              ;   in Loop: Header=BB1_135 Depth=5
	v_add_f32_e32 v23, v21, v24
	v_add_f32_e32 v24, v24, v24
	v_and_b32_e32 v25, 0x7fffffff, v23
	v_cmp_nlt_f32_e64 s[34:35], |v23|, 1.0
	s_mov_b64 s[0:1], 0
	s_mov_b64 s[22:23], 0
	s_andn2_b64 vcc, exec, s[34:35]
	s_cbranch_vccz .LBB1_141
.LBB1_135:                              ;   Parent Loop BB1_17 Depth=1
                                        ;     Parent Loop BB1_26 Depth=2
                                        ;       Parent Loop BB1_73 Depth=3
                                        ;         Parent Loop BB1_128 Depth=4
                                        ; =>        This Inner Loop Header: Depth=5
	v_cmp_ngt_f32_e32 vcc, s53, v25
	v_mov_b32_e32 v21, v23
	s_mov_b64 s[22:23], -1
	s_mov_b64 s[0:1], 0
	s_mov_b64 s[34:35], 0
	s_mov_b64 s[48:49], -1
	s_cbranch_vccnz .LBB1_138
; %bb.136:                              ;   in Loop: Header=BB1_135 Depth=5
	s_andn2_b64 vcc, exec, s[48:49]
	s_cbranch_vccz .LBB1_139
.LBB1_137:                              ;   in Loop: Header=BB1_135 Depth=5
	s_andn2_b64 vcc, exec, s[34:35]
	s_cbranch_vccz .LBB1_134
	s_branch .LBB1_140
.LBB1_138:                              ;   in Loop: Header=BB1_135 Depth=5
	v_mul_f32_e32 v23, v4, v25
	v_cmp_gt_f32_e64 s[34:35], |v20|, v23
	s_cbranch_execnz .LBB1_137
.LBB1_139:                              ;   in Loop: Header=BB1_135 Depth=5
	v_cmp_eq_f32_e32 vcc, 0, v21
	v_cmp_gt_f32_e64 s[0:1], v22, v25
	s_or_b64 s[34:35], vcc, s[0:1]
	s_mov_b64 s[22:23], 0
	s_mov_b64 s[0:1], -1
	s_andn2_b64 vcc, exec, s[34:35]
	s_cbranch_vccz .LBB1_134
.LBB1_140:                              ;   in Loop: Header=BB1_128 Depth=4
                                        ; implicit-def: $vgpr24
                                        ; implicit-def: $vgpr23
                                        ; implicit-def: $vgpr25
.LBB1_141:                              ;   in Loop: Header=BB1_128 Depth=4
	s_mov_b64 s[34:35], -1
	s_and_b64 vcc, exec, s[22:23]
	s_cbranch_vccnz .LBB1_147
; %bb.142:                              ;   in Loop: Header=BB1_128 Depth=4
	s_xor_b64 s[22:23], s[0:1], -1
	s_mov_b64 s[0:1], -1
	s_and_b64 vcc, exec, s[22:23]
	s_cbranch_vccz .LBB1_144
; %bb.143:                              ;   in Loop: Header=BB1_128 Depth=4
	s_mov_b64 s[0:1], 0
.LBB1_144:                              ;   in Loop: Header=BB1_128 Depth=4
	s_andn2_b64 vcc, exec, s[0:1]
	v_mov_b32_e32 v22, v20
	s_cbranch_vccnz .LBB1_146
; %bb.145:                              ;   in Loop: Header=BB1_128 Depth=4
	v_pk_mul_f32 v[22:23], v[4:5], v[20:21]
.LBB1_146:                              ;   in Loop: Header=BB1_128 Depth=4
	s_cbranch_execnz .LBB1_126
	s_branch .LBB1_148
.LBB1_147:                              ;   in Loop: Header=BB1_128 Depth=4
                                        ; implicit-def: $vgpr23
	s_andn2_b64 vcc, exec, s[34:35]
	s_cbranch_vccnz .LBB1_126
.LBB1_148:                              ;   in Loop: Header=BB1_128 Depth=4
	v_mov_b32_e32 v23, v21
	v_mov_b32_e32 v22, v20
	s_branch .LBB1_126
.LBB1_149:                              ;   in Loop: Header=BB1_73 Depth=3
	s_or_b64 exec, exec, s[20:21]
	s_andn2_b64 vcc, exec, s[96:97]
	s_barrier
	s_cbranch_vccnz .LBB1_159
; %bb.150:                              ;   in Loop: Header=BB1_73 Depth=3
	s_and_b64 s[0:1], s[98:99], exec
	s_cselect_b32 s24, s94, s77
	s_cmp_eq_u32 s24, s94
	s_mov_b32 s77, s94
	s_cbranch_scc1 .LBB1_159
; %bb.151:                              ;   in Loop: Header=BB1_73 Depth=3
	s_cmp_lt_i32 s24, s94
	s_cselect_b64 s[0:1], -1, 0
	s_and_b64 s[20:21], s[18:19], s[0:1]
	s_and_saveexec_b64 s[0:1], s[20:21]
	s_cbranch_execz .LBB1_158
; %bb.152:                              ;   in Loop: Header=BB1_73 Depth=3
	s_mul_i32 s20, s51, s24
	s_add_i32 s25, s76, s20
	s_mov_b32 s30, s24
.LBB1_153:                              ;   Parent Loop BB1_17 Depth=1
                                        ;     Parent Loop BB1_26 Depth=2
                                        ;       Parent Loop BB1_73 Depth=3
                                        ; =>      This Loop Header: Depth=4
                                        ;           Child Loop BB1_154 Depth 5
                                        ;           Child Loop BB1_156 Depth 5
	v_mov_b32_e32 v2, 0
	s_mov_b64 s[20:21], s[40:41]
	s_mov_b32 s22, s25
	s_mov_b32 s34, s75
.LBB1_154:                              ;   Parent Loop BB1_17 Depth=1
                                        ;     Parent Loop BB1_26 Depth=2
                                        ;       Parent Loop BB1_73 Depth=3
                                        ;         Parent Loop BB1_153 Depth=4
                                        ; =>        This Inner Loop Header: Depth=5
	s_ashr_i32 s23, s22, 31
	s_lshl_b64 s[48:49], s[22:23], 2
	s_add_u32 s48, s46, s48
	s_addc_u32 s49, s47, s49
	global_load_dword v15, v3, s[20:21]
	global_load_dword v20, v3, s[48:49]
	s_add_i32 s34, s34, -1
	s_add_i32 s22, s22, 1
	s_add_u32 s20, s20, 4
	s_addc_u32 s21, s21, 0
	s_cmp_lg_u32 s34, 0
	s_waitcnt vmcnt(0)
	v_fmac_f32_e32 v2, v15, v20
	s_cbranch_scc1 .LBB1_154
; %bb.155:                              ;   in Loop: Header=BB1_153 Depth=4
	s_mov_b32 s22, 0
	s_mov_b64 s[20:21], s[40:41]
.LBB1_156:                              ;   Parent Loop BB1_17 Depth=1
                                        ;     Parent Loop BB1_26 Depth=2
                                        ;       Parent Loop BB1_73 Depth=3
                                        ;         Parent Loop BB1_153 Depth=4
                                        ; =>        This Inner Loop Header: Depth=5
	s_add_i32 s34, s25, s22
	s_ashr_i32 s35, s34, 31
	s_lshl_b64 s[34:35], s[34:35], 2
	s_add_u32 s34, s46, s34
	s_addc_u32 s35, s47, s35
	global_load_dword v15, v3, s[20:21]
	global_load_dword v20, v3, s[34:35]
	s_add_i32 s22, s22, 1
	s_waitcnt vmcnt(0)
	v_fma_f32 v15, -v2, v20, v15
	global_store_dword v3, v15, s[20:21]
	s_add_u32 s20, s20, 4
	s_addc_u32 s21, s21, 0
	s_cmp_lg_u32 s75, s22
	s_cbranch_scc1 .LBB1_156
; %bb.157:                              ;   in Loop: Header=BB1_153 Depth=4
	s_add_i32 s30, s30, 1
	s_add_i32 s25, s25, s51
	s_cmp_lt_i32 s30, s94
	s_cbranch_scc1 .LBB1_153
.LBB1_158:                              ;   in Loop: Header=BB1_73 Depth=3
	s_or_b64 exec, exec, s[0:1]
	s_mov_b32 s77, s24
	s_barrier
.LBB1_159:                              ;   in Loop: Header=BB1_73 Depth=3
	v_mov_b32_e32 v2, 0
	v_bfrev_b32_e32 v15, -2
	s_and_saveexec_b64 s[20:21], s[12:13]
	s_cbranch_execz .LBB1_163
; %bb.160:                              ;   in Loop: Header=BB1_73 Depth=3
	v_mov_b32_e32 v2, 0
	v_bfrev_b32_e32 v15, -2
	s_mov_b64 s[22:23], 0
	v_mov_b64_e32 v[20:21], v[8:9]
	v_mov_b32_e32 v22, v0
.LBB1_161:                              ;   Parent Loop BB1_17 Depth=1
                                        ;     Parent Loop BB1_26 Depth=2
                                        ;       Parent Loop BB1_73 Depth=3
                                        ; =>      This Inner Loop Header: Depth=4
	global_load_dword v23, v[20:21], off
	v_cmp_eq_u32_e32 vcc, s45, v15
	v_add_u32_e32 v24, 1, v22
	v_add_u32_e32 v22, 0x100, v22
	v_cmp_le_u32_e64 s[0:1], s75, v22
	v_lshl_add_u64 v[20:21], v[20:21], 0, s[72:73]
	s_waitcnt vmcnt(0)
	v_cmp_lt_f32_e64 s[24:25], v2, |v23|
	s_or_b64 vcc, s[24:25], vcc
	v_cndmask_b32_e64 v2, v2, |v23|, vcc
	s_or_b64 s[22:23], s[0:1], s[22:23]
	v_cndmask_b32_e32 v15, v15, v24, vcc
	s_andn2_b64 exec, exec, s[22:23]
	s_cbranch_execnz .LBB1_161
; %bb.162:                              ;   in Loop: Header=BB1_73 Depth=3
	s_or_b64 exec, exec, s[22:23]
.LBB1_163:                              ;   in Loop: Header=BB1_73 Depth=3
	s_or_b64 exec, exec, s[20:21]
	ds_write2st64_b32 v29, v2, v15 offset1:8
	s_waitcnt lgkmcnt(0)
	s_barrier
	s_and_saveexec_b64 s[20:21], s[2:3]
	s_cbranch_execz .LBB1_169
; %bb.164:                              ;   in Loop: Header=BB1_73 Depth=3
	ds_read2st64_b32 v[20:21], v29 offset0:2 offset1:10
	s_waitcnt lgkmcnt(0)
	v_cmp_lt_f32_e64 s[22:23], v2, v20
	v_cmp_nlt_f32_e32 vcc, v2, v20
	s_and_saveexec_b64 s[24:25], vcc
; %bb.165:                              ;   in Loop: Header=BB1_73 Depth=3
	v_cmp_eq_f32_e32 vcc, v2, v20
	v_cmp_gt_i32_e64 s[0:1], v15, v21
	s_and_b64 s[0:1], vcc, s[0:1]
	s_andn2_b64 s[22:23], s[22:23], exec
	s_and_b64 s[0:1], s[0:1], exec
	s_or_b64 s[22:23], s[22:23], s[0:1]
; %bb.166:                              ;   in Loop: Header=BB1_73 Depth=3
	s_or_b64 exec, exec, s[24:25]
	s_and_saveexec_b64 s[0:1], s[22:23]
; %bb.167:                              ;   in Loop: Header=BB1_73 Depth=3
	v_mov_b32_e32 v15, v21
	v_mov_b32_e32 v2, v20
	ds_write2st64_b32 v29, v20, v21 offset1:8
; %bb.168:                              ;   in Loop: Header=BB1_73 Depth=3
	s_or_b64 exec, exec, s[0:1]
.LBB1_169:                              ;   in Loop: Header=BB1_73 Depth=3
	s_or_b64 exec, exec, s[20:21]
	s_waitcnt lgkmcnt(0)
	s_barrier
	s_and_saveexec_b64 s[24:25], s[4:5]
	s_cbranch_execz .LBB1_196
; %bb.170:                              ;   in Loop: Header=BB1_73 Depth=3
	ds_read2st64_b32 v[20:21], v29 offset0:1 offset1:9
	s_waitcnt lgkmcnt(0)
	v_cmp_lt_f32_e64 s[20:21], v2, v20
	v_cmp_nlt_f32_e32 vcc, v2, v20
	s_and_saveexec_b64 s[22:23], vcc
; %bb.171:                              ;   in Loop: Header=BB1_73 Depth=3
	v_cmp_eq_f32_e32 vcc, v2, v20
	v_cmp_gt_i32_e64 s[0:1], v15, v21
	s_and_b64 s[0:1], vcc, s[0:1]
	s_andn2_b64 s[20:21], s[20:21], exec
	s_and_b64 s[0:1], s[0:1], exec
	s_or_b64 s[20:21], s[20:21], s[0:1]
; %bb.172:                              ;   in Loop: Header=BB1_73 Depth=3
	s_or_b64 exec, exec, s[22:23]
	s_and_saveexec_b64 s[0:1], s[20:21]
; %bb.173:                              ;   in Loop: Header=BB1_73 Depth=3
	v_mov_b32_e32 v2, v20
	v_mov_b32_e32 v15, v21
	ds_write2st64_b32 v29, v20, v21 offset1:8
; %bb.174:                              ;   in Loop: Header=BB1_73 Depth=3
	s_or_b64 exec, exec, s[0:1]
	v_add_u32_e32 v20, 0x80, v29
	ds_read2st64_b32 v[20:21], v20 offset1:8
	s_waitcnt lgkmcnt(0)
	v_cmp_lt_f32_e64 s[20:21], v2, v20
	v_cmp_nlt_f32_e32 vcc, v2, v20
	s_and_saveexec_b64 s[22:23], vcc
; %bb.175:                              ;   in Loop: Header=BB1_73 Depth=3
	v_cmp_eq_f32_e32 vcc, v2, v20
	v_cmp_gt_i32_e64 s[0:1], v15, v21
	s_and_b64 s[0:1], vcc, s[0:1]
	s_andn2_b64 s[20:21], s[20:21], exec
	s_and_b64 s[0:1], s[0:1], exec
	s_or_b64 s[20:21], s[20:21], s[0:1]
; %bb.176:                              ;   in Loop: Header=BB1_73 Depth=3
	s_or_b64 exec, exec, s[22:23]
	s_and_saveexec_b64 s[0:1], s[20:21]
; %bb.177:                              ;   in Loop: Header=BB1_73 Depth=3
	v_mov_b32_e32 v2, v20
	v_mov_b32_e32 v15, v21
	ds_write2st64_b32 v29, v20, v21 offset1:8
; %bb.178:                              ;   in Loop: Header=BB1_73 Depth=3
	s_or_b64 exec, exec, s[0:1]
	v_add_u32_e32 v20, 64, v29
	ds_read2st64_b32 v[20:21], v20 offset1:8
	;; [unrolled: 22-line block ×6, first 2 shown]
	s_waitcnt lgkmcnt(0)
	v_cmp_eq_f32_e64 s[0:1], v2, v20
	v_cmp_gt_i32_e64 s[20:21], v15, v21
	v_cmp_lt_f32_e32 vcc, v2, v20
	s_and_b64 s[0:1], s[0:1], s[20:21]
	s_or_b64 s[0:1], vcc, s[0:1]
	s_and_b64 exec, exec, s[0:1]
; %bb.195:                              ;   in Loop: Header=BB1_73 Depth=3
	ds_write2st64_b32 v29, v20, v21 offset1:8
.LBB1_196:                              ;   in Loop: Header=BB1_73 Depth=3
	s_or_b64 exec, exec, s[24:25]
	s_waitcnt lgkmcnt(0)
	s_barrier
	ds_read_b32 v2, v34
	s_add_i32 s20, s90, 1
	s_waitcnt lgkmcnt(0)
	v_cmp_ge_f32_e32 vcc, v2, v38
	s_nop 1
	v_cndmask_b32_e64 v2, 0, 1, vcc
	s_nop 0
	v_readfirstlane_b32 s0, v2
	s_add_i32 s95, s95, s0
	s_cmp_lt_u32 s90, 4
	s_cselect_b64 s[22:23], -1, 0
	s_cmp_lt_u32 s95, 2
	s_cselect_b64 s[0:1], -1, 0
	s_and_b64 s[22:23], s[22:23], s[0:1]
	s_and_b64 vcc, exec, s[22:23]
	s_cbranch_vccz .LBB1_198
; %bb.197:                              ;   in Loop: Header=BB1_73 Depth=3
	s_mov_b32 s90, s20
	v_mov_b32_e32 v2, 0
	v_bfrev_b32_e32 v15, -2
	s_and_saveexec_b64 s[20:21], s[12:13]
	s_cbranch_execnz .LBB1_70
	s_branch .LBB1_73
.LBB1_198:                              ;   in Loop: Header=BB1_26 Depth=2
	s_and_b64 s[20:21], s[62:63], s[0:1]
	s_and_saveexec_b64 s[0:1], s[20:21]
	s_cbranch_execz .LBB1_200
; %bb.199:                              ;   in Loop: Header=BB1_26 Depth=2
	ds_read_b32 v20, v3
	s_add_i32 s20, s94, 1
	v_mov_b32_e32 v15, s20
	v_readlane_b32 s20, v48, 10
	v_readlane_b32 s21, v48, 11
	s_waitcnt lgkmcnt(0)
	v_ashrrev_i32_e32 v21, 31, v20
	v_add_u32_e32 v2, 1, v20
	v_lshlrev_b64 v[20:21], 2, v[20:21]
	v_lshl_add_u64 v[20:21], s[20:21], 0, v[20:21]
	global_store_dword v[20:21], v15, off
	ds_write_b32 v3, v2
.LBB1_200:                              ;   in Loop: Header=BB1_26 Depth=2
	s_or_b64 exec, exec, s[0:1]
	v_mov_b32_e32 v2, 0
	v_bfrev_b32_e32 v15, -2
	s_and_saveexec_b64 s[20:21], s[12:13]
	s_cbranch_execz .LBB1_204
; %bb.201:                              ;   in Loop: Header=BB1_26 Depth=2
	v_mov_b32_e32 v2, 0
	v_bfrev_b32_e32 v15, -2
	s_mov_b64 s[22:23], 0
	v_mov_b64_e32 v[20:21], v[8:9]
	v_mov_b32_e32 v22, v0
.LBB1_202:                              ;   Parent Loop BB1_17 Depth=1
                                        ;     Parent Loop BB1_26 Depth=2
                                        ; =>    This Inner Loop Header: Depth=3
	global_load_dword v23, v[20:21], off
	v_cmp_eq_u32_e32 vcc, s45, v15
	v_add_u32_e32 v24, 1, v22
	v_add_u32_e32 v22, 0x100, v22
	v_cmp_le_u32_e64 s[0:1], s75, v22
	v_lshl_add_u64 v[20:21], v[20:21], 0, s[72:73]
	s_waitcnt vmcnt(0)
	v_cmp_lt_f32_e64 s[24:25], v2, |v23|
	s_or_b64 vcc, s[24:25], vcc
	v_cndmask_b32_e64 v2, v2, |v23|, vcc
	s_or_b64 s[22:23], s[0:1], s[22:23]
	v_cndmask_b32_e32 v15, v15, v24, vcc
	s_andn2_b64 exec, exec, s[22:23]
	s_cbranch_execnz .LBB1_202
; %bb.203:                              ;   in Loop: Header=BB1_26 Depth=2
	s_or_b64 exec, exec, s[22:23]
.LBB1_204:                              ;   in Loop: Header=BB1_26 Depth=2
	s_or_b64 exec, exec, s[20:21]
	ds_write2st64_b32 v29, v2, v15 offset1:8
	s_waitcnt lgkmcnt(0)
	s_barrier
	s_and_saveexec_b64 s[20:21], s[2:3]
	s_cbranch_execz .LBB1_210
; %bb.205:                              ;   in Loop: Header=BB1_26 Depth=2
	ds_read2st64_b32 v[20:21], v29 offset0:2 offset1:10
	s_waitcnt lgkmcnt(0)
	v_cmp_lt_f32_e64 s[22:23], v2, v20
	v_cmp_nlt_f32_e32 vcc, v2, v20
	s_and_saveexec_b64 s[24:25], vcc
; %bb.206:                              ;   in Loop: Header=BB1_26 Depth=2
	v_cmp_eq_f32_e32 vcc, v2, v20
	v_cmp_gt_i32_e64 s[0:1], v15, v21
	s_and_b64 s[0:1], vcc, s[0:1]
	s_andn2_b64 s[22:23], s[22:23], exec
	s_and_b64 s[0:1], s[0:1], exec
	s_or_b64 s[22:23], s[22:23], s[0:1]
; %bb.207:                              ;   in Loop: Header=BB1_26 Depth=2
	s_or_b64 exec, exec, s[24:25]
	s_and_saveexec_b64 s[0:1], s[22:23]
; %bb.208:                              ;   in Loop: Header=BB1_26 Depth=2
	v_mov_b32_e32 v15, v21
	v_mov_b32_e32 v2, v20
	ds_write2st64_b32 v29, v20, v21 offset1:8
; %bb.209:                              ;   in Loop: Header=BB1_26 Depth=2
	s_or_b64 exec, exec, s[0:1]
.LBB1_210:                              ;   in Loop: Header=BB1_26 Depth=2
	s_or_b64 exec, exec, s[20:21]
	s_waitcnt lgkmcnt(0)
	s_barrier
	s_and_saveexec_b64 s[24:25], s[4:5]
	s_cbranch_execz .LBB1_237
; %bb.211:                              ;   in Loop: Header=BB1_26 Depth=2
	ds_read2st64_b32 v[20:21], v29 offset0:1 offset1:9
	s_waitcnt lgkmcnt(0)
	v_cmp_lt_f32_e64 s[20:21], v2, v20
	v_cmp_nlt_f32_e32 vcc, v2, v20
	s_and_saveexec_b64 s[22:23], vcc
; %bb.212:                              ;   in Loop: Header=BB1_26 Depth=2
	v_cmp_eq_f32_e32 vcc, v2, v20
	v_cmp_gt_i32_e64 s[0:1], v15, v21
	s_and_b64 s[0:1], vcc, s[0:1]
	s_andn2_b64 s[20:21], s[20:21], exec
	s_and_b64 s[0:1], s[0:1], exec
	s_or_b64 s[20:21], s[20:21], s[0:1]
; %bb.213:                              ;   in Loop: Header=BB1_26 Depth=2
	s_or_b64 exec, exec, s[22:23]
	s_and_saveexec_b64 s[0:1], s[20:21]
; %bb.214:                              ;   in Loop: Header=BB1_26 Depth=2
	v_mov_b32_e32 v2, v20
	v_mov_b32_e32 v15, v21
	ds_write2st64_b32 v29, v20, v21 offset1:8
; %bb.215:                              ;   in Loop: Header=BB1_26 Depth=2
	s_or_b64 exec, exec, s[0:1]
	v_add_u32_e32 v20, 0x80, v29
	ds_read2st64_b32 v[20:21], v20 offset1:8
	s_waitcnt lgkmcnt(0)
	v_cmp_lt_f32_e64 s[20:21], v2, v20
	v_cmp_nlt_f32_e32 vcc, v2, v20
	s_and_saveexec_b64 s[22:23], vcc
; %bb.216:                              ;   in Loop: Header=BB1_26 Depth=2
	v_cmp_eq_f32_e32 vcc, v2, v20
	v_cmp_gt_i32_e64 s[0:1], v15, v21
	s_and_b64 s[0:1], vcc, s[0:1]
	s_andn2_b64 s[20:21], s[20:21], exec
	s_and_b64 s[0:1], s[0:1], exec
	s_or_b64 s[20:21], s[20:21], s[0:1]
; %bb.217:                              ;   in Loop: Header=BB1_26 Depth=2
	s_or_b64 exec, exec, s[22:23]
	s_and_saveexec_b64 s[0:1], s[20:21]
; %bb.218:                              ;   in Loop: Header=BB1_26 Depth=2
	v_mov_b32_e32 v2, v20
	v_mov_b32_e32 v15, v21
	ds_write2st64_b32 v29, v20, v21 offset1:8
; %bb.219:                              ;   in Loop: Header=BB1_26 Depth=2
	s_or_b64 exec, exec, s[0:1]
	v_add_u32_e32 v20, 64, v29
	ds_read2st64_b32 v[20:21], v20 offset1:8
	;; [unrolled: 22-line block ×6, first 2 shown]
	s_waitcnt lgkmcnt(0)
	v_cmp_eq_f32_e64 s[0:1], v2, v20
	v_cmp_gt_i32_e64 s[20:21], v15, v21
	v_cmp_lt_f32_e32 vcc, v2, v20
	s_and_b64 s[0:1], s[0:1], s[20:21]
	s_or_b64 s[0:1], vcc, s[0:1]
	s_and_b64 exec, exec, s[0:1]
; %bb.236:                              ;   in Loop: Header=BB1_26 Depth=2
	ds_write2st64_b32 v29, v20, v21 offset1:8
.LBB1_237:                              ;   in Loop: Header=BB1_26 Depth=2
	s_or_b64 exec, exec, s[24:25]
	v_mov_b32_e32 v2, 0
	s_and_saveexec_b64 s[0:1], s[12:13]
	s_cbranch_execz .LBB1_241
; %bb.238:                              ;   in Loop: Header=BB1_26 Depth=2
	v_mov_b32_e32 v2, 0
	s_mov_b64 s[20:21], 0
	v_mov_b64_e32 v[20:21], v[8:9]
	v_mov_b32_e32 v15, v0
.LBB1_239:                              ;   Parent Loop BB1_17 Depth=1
                                        ;     Parent Loop BB1_26 Depth=2
                                        ; =>    This Inner Loop Header: Depth=3
	global_load_dword v22, v[20:21], off
	v_add_u32_e32 v15, 0x100, v15
	v_cmp_le_u32_e32 vcc, s75, v15
	v_lshl_add_u64 v[20:21], v[20:21], 0, s[72:73]
	s_or_b64 s[20:21], vcc, s[20:21]
	s_waitcnt vmcnt(0)
	v_fmac_f32_e32 v2, v22, v22
	s_andn2_b64 exec, exec, s[20:21]
	s_cbranch_execnz .LBB1_239
; %bb.240:                              ;   in Loop: Header=BB1_26 Depth=2
	s_or_b64 exec, exec, s[20:21]
.LBB1_241:                              ;   in Loop: Header=BB1_26 Depth=2
	s_or_b64 exec, exec, s[0:1]
	ds_write_b32 v29, v2 offset:1024
	s_waitcnt lgkmcnt(0)
	s_barrier
	s_and_saveexec_b64 s[0:1], s[2:3]
	s_cbranch_execz .LBB1_243
; %bb.242:                              ;   in Loop: Header=BB1_26 Depth=2
	ds_read_b32 v15, v29 offset:1536
	s_waitcnt lgkmcnt(0)
	v_add_f32_e32 v2, v2, v15
.LBB1_243:                              ;   in Loop: Header=BB1_26 Depth=2
	s_or_b64 exec, exec, s[0:1]
	s_barrier
	s_and_saveexec_b64 s[0:1], s[2:3]
; %bb.244:                              ;   in Loop: Header=BB1_26 Depth=2
	ds_write_b32 v29, v2 offset:1024
; %bb.245:                              ;   in Loop: Header=BB1_26 Depth=2
	s_or_b64 exec, exec, s[0:1]
	s_waitcnt lgkmcnt(0)
	s_barrier
	s_and_saveexec_b64 s[0:1], s[4:5]
	s_cbranch_execz .LBB1_247
; %bb.246:                              ;   in Loop: Header=BB1_26 Depth=2
	ds_read2st64_b32 v[20:21], v29 offset0:4 offset1:5
	v_add_u32_e32 v2, 0x400, v29
	s_waitcnt lgkmcnt(0)
	v_add_f32_e32 v15, v20, v21
	ds_write_b32 v29, v15 offset:1024
	buffer_wbl2 sc1
	s_waitcnt vmcnt(0) lgkmcnt(0)
	buffer_inv sc1
	ds_read2_b32 v[20:21], v2 offset1:32
	s_waitcnt lgkmcnt(0)
	v_add_f32_e32 v15, v20, v21
	ds_write_b32 v29, v15 offset:1024
	buffer_wbl2 sc1
	s_waitcnt lgkmcnt(0)
	buffer_inv sc1
	ds_read2_b32 v[20:21], v2 offset1:16
	s_waitcnt lgkmcnt(0)
	v_add_f32_e32 v15, v20, v21
	ds_write_b32 v29, v15 offset:1024
	buffer_wbl2 sc1
	s_waitcnt lgkmcnt(0)
	;; [unrolled: 7-line block ×6, first 2 shown]
	buffer_inv sc1
.LBB1_247:                              ;   in Loop: Header=BB1_26 Depth=2
	s_or_b64 exec, exec, s[0:1]
	s_and_saveexec_b64 s[20:21], s[18:19]
	s_cbranch_execz .LBB1_249
; %bb.248:                              ;   in Loop: Header=BB1_26 Depth=2
	ds_read_b32 v2, v34 offset:1024
	s_mov_b32 s0, 0xf800000
	s_waitcnt lgkmcnt(0)
	v_mul_f32_e32 v15, 0x4f800000, v2
	v_cmp_gt_f32_e32 vcc, s0, v2
	s_nop 1
	v_cndmask_b32_e32 v2, v2, v15, vcc
	v_sqrt_f32_e32 v15, v2
	s_nop 0
	v_add_u32_e32 v20, -1, v15
	v_add_u32_e32 v21, 1, v15
	v_fma_f32 v22, -v20, v15, v2
	v_fma_f32 v23, -v21, v15, v2
	v_cmp_ge_f32_e64 s[0:1], 0, v22
	s_nop 1
	v_cndmask_b32_e64 v15, v15, v20, s[0:1]
	v_cmp_lt_f32_e64 s[0:1], 0, v23
	s_nop 1
	v_cndmask_b32_e64 v15, v15, v21, s[0:1]
	v_mul_f32_e32 v20, 0x37800000, v15
	v_cndmask_b32_e32 v15, v15, v20, vcc
	v_cmp_class_f32_e32 vcc, v2, v31
	s_nop 1
	v_cndmask_b32_e32 v2, v15, v2, vcc
	ds_write_b32 v34, v2 offset:1024
.LBB1_249:                              ;   in Loop: Header=BB1_26 Depth=2
	s_or_b64 exec, exec, s[20:21]
	s_waitcnt lgkmcnt(0)
	s_barrier
	ds_read2st64_b32 v[20:21], v34 offset0:4 offset1:8
	s_waitcnt lgkmcnt(0)
	v_ashrrev_i32_e32 v23, 31, v21
	v_mov_b32_e32 v22, v21
	v_lshlrev_b64 v[22:23], 2, v[22:23]
	v_lshl_add_u64 v[22:23], s[40:41], 0, v[22:23]
	global_load_dword v2, v[22:23], off offset:-4
	s_barrier
	s_and_saveexec_b64 s[0:1], s[8:9]
	s_cbranch_execz .LBB1_259
; %bb.250:                              ;   in Loop: Header=BB1_26 Depth=2
	s_waitcnt vmcnt(0)
	v_cmp_nle_f32_e32 vcc, 0, v2
	s_mov_b64 s[22:23], -1
	s_nop 0
	v_cndmask_b32_e64 v2, 1.0, -1.0, vcc
	v_div_scale_f32 v15, s[20:21], v20, v20, v2
	v_rcp_f32_e32 v21, v15
	v_div_scale_f32 v22, vcc, v2, v20, v2
	v_fma_f32 v23, -v15, v21, 1.0
	v_fmac_f32_e32 v21, v23, v21
	v_mul_f32_e32 v23, v22, v21
	v_fma_f32 v24, -v15, v23, v22
	v_fmac_f32_e32 v23, v24, v21
	v_fma_f32 v15, -v15, v23, v22
	v_div_fmas_f32 v15, v15, v21, v23
	v_div_fixup_f32 v20, v15, v20, v2
	v_mov_b32_e32 v2, v0
	v_mov_b64_e32 v[22:23], v[6:7]
	s_and_saveexec_b64 s[20:21], s[14:15]
	s_cbranch_execz .LBB1_256
; %bb.251:                              ;   in Loop: Header=BB1_26 Depth=2
	v_mov_b32_e32 v21, v20
	s_mov_b64 s[22:23], 0
	v_mov_b32_e32 v15, v40
	v_mov_b64_e32 v[22:23], v[0:1]
.LBB1_252:                              ;   Parent Loop BB1_17 Depth=1
                                        ;     Parent Loop BB1_26 Depth=2
                                        ; =>    This Inner Loop Header: Depth=3
	v_mov_b32_e32 v2, v22
	v_lshl_add_u64 v[24:25], v[2:3], 2, s[40:41]
	v_mov_b32_e32 v2, v23
	v_lshl_add_u64 v[26:27], v[2:3], 2, s[40:41]
	global_load_dword v42, v[24:25], off
	global_load_dword v43, v[26:27], off
	v_add_u32_e32 v15, -2, v15
	v_cmp_eq_u32_e32 vcc, 0, v15
	v_add_u32_e32 v22, 0x200, v22
	v_add_u32_e32 v23, 0x200, v23
	s_or_b64 s[22:23], vcc, s[22:23]
	s_waitcnt vmcnt(0)
	v_pk_mul_f32 v[42:43], v[20:21], v[42:43]
	global_store_dword v[24:25], v42, off
	global_store_dword v[26:27], v43, off
	s_andn2_b64 exec, exec, s[22:23]
	s_cbranch_execnz .LBB1_252
; %bb.253:                              ;   in Loop: Header=BB1_26 Depth=2
	s_or_b64 exec, exec, s[22:23]
	s_mov_b64 s[22:23], 0
                                        ; implicit-def: $vgpr22_vgpr23
	s_and_saveexec_b64 s[24:25], s[16:17]
; %bb.254:                              ;   in Loop: Header=BB1_26 Depth=2
	v_mov_b32_e32 v15, v3
	s_mov_b64 s[22:23], exec
	v_lshlrev_b64 v[22:23], 2, v[14:15]
; %bb.255:                              ;   in Loop: Header=BB1_26 Depth=2
	s_or_b64 exec, exec, s[24:25]
	s_orn2_b64 s[22:23], s[22:23], exec
	v_mov_b32_e32 v2, v14
.LBB1_256:                              ;   in Loop: Header=BB1_26 Depth=2
	s_or_b64 exec, exec, s[20:21]
	s_and_b64 exec, exec, s[22:23]
	s_cbranch_execz .LBB1_259
; %bb.257:                              ;   in Loop: Header=BB1_26 Depth=2
	v_lshl_add_u64 v[22:23], s[40:41], 0, v[22:23]
	s_mov_b64 s[20:21], 0
.LBB1_258:                              ;   Parent Loop BB1_17 Depth=1
                                        ;     Parent Loop BB1_26 Depth=2
                                        ; =>    This Inner Loop Header: Depth=3
	global_load_dword v15, v[22:23], off
	v_add_u32_e32 v2, 0x100, v2
	v_cmp_lt_i32_e32 vcc, s80, v2
	s_or_b64 s[20:21], vcc, s[20:21]
	s_waitcnt vmcnt(0)
	v_mul_f32_e32 v15, v20, v15
	global_store_dword v[22:23], v15, off
	v_lshl_add_u64 v[22:23], v[22:23], 0, s[72:73]
	s_andn2_b64 exec, exec, s[20:21]
	s_cbranch_execnz .LBB1_258
.LBB1_259:                              ;   in Loop: Header=BB1_26 Depth=2
	s_or_b64 exec, exec, s[0:1]
	s_barrier
	s_and_saveexec_b64 s[20:21], s[6:7]
	s_cbranch_execz .LBB1_264
.LBB1_260:                              ;   in Loop: Header=BB1_26 Depth=2
	s_mov_b64 s[22:23], 0
	v_mov_b32_e32 v15, v0
	s_branch .LBB1_262
.LBB1_261:                              ;   in Loop: Header=BB1_262 Depth=3
	s_or_b64 exec, exec, s[0:1]
	v_add_u32_e32 v20, s85, v15
	v_add_u32_e32 v15, 0x100, v15
	v_ashrrev_i32_e32 v21, 31, v20
	v_cmp_le_i32_e32 vcc, s44, v15
	v_lshl_add_u64 v[20:21], v[20:21], 2, s[46:47]
	s_or_b64 s[22:23], vcc, s[22:23]
	s_waitcnt vmcnt(0)
	global_store_dword v[20:21], v2, off
	s_andn2_b64 exec, exec, s[22:23]
	s_cbranch_execz .LBB1_264
.LBB1_262:                              ;   Parent Loop BB1_17 Depth=1
                                        ;     Parent Loop BB1_26 Depth=2
                                        ; =>    This Inner Loop Header: Depth=3
	v_cmp_le_i32_e32 vcc, s76, v15
	v_cmp_gt_i32_e64 s[0:1], s78, v15
	s_and_b64 s[24:25], vcc, s[0:1]
	s_waitcnt vmcnt(0)
	v_mov_b32_e32 v2, 0
	s_and_saveexec_b64 s[0:1], s[24:25]
	s_cbranch_execz .LBB1_261
; %bb.263:                              ;   in Loop: Header=BB1_262 Depth=3
	v_add_u32_e32 v2, s81, v15
	v_lshl_add_u64 v[20:21], v[2:3], 2, s[40:41]
	global_load_dword v2, v[20:21], off
	s_branch .LBB1_261
.LBB1_264:                              ;   in Loop: Header=BB1_26 Depth=2
	s_or_b64 exec, exec, s[20:21]
	s_add_i32 s84, s84, 1
	s_add_i32 s94, s94, 1
	;; [unrolled: 1-line block ×3, first 2 shown]
	s_cmp_ge_i32 s94, s26
	s_barrier
	s_cselect_b64 s[0:1], -1, 0
	s_mov_b32 s20, s39
	s_and_b64 vcc, exec, s[0:1]
	s_cbranch_vccnz .LBB1_15
.LBB1_265:                              ;   in Loop: Header=BB1_26 Depth=2
	s_waitcnt vmcnt(0)
	v_mov_b32_e32 v2, v35
	s_branch .LBB1_26
.LBB1_266:
	s_and_saveexec_b64 s[0:1], s[18:19]
	s_cbranch_execz .LBB1_268
; %bb.267:
	v_mov_b32_e32 v0, 0
	ds_read_b32 v1, v0
	v_readlane_b32 s4, v48, 2
	v_readlane_b32 s6, v48, 4
	v_readlane_b32 s7, v48, 5
	v_readlane_b32 s10, v48, 8
	v_readlane_b32 s11, v48, 9
	v_readlane_b32 s0, v48, 0
	s_mov_b64 s[6:7], s[10:11]
	v_readlane_b32 s1, v48, 1
	s_add_u32 s0, s6, s0
	s_addc_u32 s1, s7, s1
	v_readlane_b32 s5, v48, 3
	v_readlane_b32 s8, v48, 6
	;; [unrolled: 1-line block ×3, first 2 shown]
	s_waitcnt lgkmcnt(0)
	global_store_dword v0, v1, s[0:1]
.LBB1_268:
	s_endpgm
	.section	.rodata,"a",@progbits
	.p2align	6, 0x0
	.amdhsa_kernel _ZN9rocsolver6v33100L12stein_kernelIffPfEEviPT0_lS4_lPiS4_lS5_lS5_lT1_iilS5_lS5_S4_S5_S3_S3_
		.amdhsa_group_segment_fixed_size 8
		.amdhsa_private_segment_fixed_size 0
		.amdhsa_kernarg_size 168
		.amdhsa_user_sgpr_count 2
		.amdhsa_user_sgpr_dispatch_ptr 0
		.amdhsa_user_sgpr_queue_ptr 0
		.amdhsa_user_sgpr_kernarg_segment_ptr 1
		.amdhsa_user_sgpr_dispatch_id 0
		.amdhsa_user_sgpr_kernarg_preload_length 0
		.amdhsa_user_sgpr_kernarg_preload_offset 0
		.amdhsa_user_sgpr_private_segment_size 0
		.amdhsa_uses_dynamic_stack 0
		.amdhsa_enable_private_segment 0
		.amdhsa_system_sgpr_workgroup_id_x 1
		.amdhsa_system_sgpr_workgroup_id_y 1
		.amdhsa_system_sgpr_workgroup_id_z 0
		.amdhsa_system_sgpr_workgroup_info 0
		.amdhsa_system_vgpr_workitem_id 0
		.amdhsa_next_free_vgpr 49
		.amdhsa_next_free_sgpr 100
		.amdhsa_accum_offset 52
		.amdhsa_reserve_vcc 1
		.amdhsa_float_round_mode_32 0
		.amdhsa_float_round_mode_16_64 0
		.amdhsa_float_denorm_mode_32 3
		.amdhsa_float_denorm_mode_16_64 3
		.amdhsa_dx10_clamp 1
		.amdhsa_ieee_mode 1
		.amdhsa_fp16_overflow 0
		.amdhsa_tg_split 0
		.amdhsa_exception_fp_ieee_invalid_op 0
		.amdhsa_exception_fp_denorm_src 0
		.amdhsa_exception_fp_ieee_div_zero 0
		.amdhsa_exception_fp_ieee_overflow 0
		.amdhsa_exception_fp_ieee_underflow 0
		.amdhsa_exception_fp_ieee_inexact 0
		.amdhsa_exception_int_div_zero 0
	.end_amdhsa_kernel
	.section	.text._ZN9rocsolver6v33100L12stein_kernelIffPfEEviPT0_lS4_lPiS4_lS5_lS5_lT1_iilS5_lS5_S4_S5_S3_S3_,"axG",@progbits,_ZN9rocsolver6v33100L12stein_kernelIffPfEEviPT0_lS4_lPiS4_lS5_lS5_lT1_iilS5_lS5_S4_S5_S3_S3_,comdat
.Lfunc_end1:
	.size	_ZN9rocsolver6v33100L12stein_kernelIffPfEEviPT0_lS4_lPiS4_lS5_lS5_lT1_iilS5_lS5_S4_S5_S3_S3_, .Lfunc_end1-_ZN9rocsolver6v33100L12stein_kernelIffPfEEviPT0_lS4_lPiS4_lS5_lS5_lT1_iilS5_lS5_S4_S5_S3_S3_
                                        ; -- End function
	.set _ZN9rocsolver6v33100L12stein_kernelIffPfEEviPT0_lS4_lPiS4_lS5_lS5_lT1_iilS5_lS5_S4_S5_S3_S3_.num_vgpr, 49
	.set _ZN9rocsolver6v33100L12stein_kernelIffPfEEviPT0_lS4_lPiS4_lS5_lS5_lT1_iilS5_lS5_S4_S5_S3_S3_.num_agpr, 0
	.set _ZN9rocsolver6v33100L12stein_kernelIffPfEEviPT0_lS4_lPiS4_lS5_lS5_lT1_iilS5_lS5_S4_S5_S3_S3_.numbered_sgpr, 100
	.set _ZN9rocsolver6v33100L12stein_kernelIffPfEEviPT0_lS4_lPiS4_lS5_lS5_lT1_iilS5_lS5_S4_S5_S3_S3_.num_named_barrier, 0
	.set _ZN9rocsolver6v33100L12stein_kernelIffPfEEviPT0_lS4_lPiS4_lS5_lS5_lT1_iilS5_lS5_S4_S5_S3_S3_.private_seg_size, 0
	.set _ZN9rocsolver6v33100L12stein_kernelIffPfEEviPT0_lS4_lPiS4_lS5_lS5_lT1_iilS5_lS5_S4_S5_S3_S3_.uses_vcc, 1
	.set _ZN9rocsolver6v33100L12stein_kernelIffPfEEviPT0_lS4_lPiS4_lS5_lS5_lT1_iilS5_lS5_S4_S5_S3_S3_.uses_flat_scratch, 0
	.set _ZN9rocsolver6v33100L12stein_kernelIffPfEEviPT0_lS4_lPiS4_lS5_lS5_lT1_iilS5_lS5_S4_S5_S3_S3_.has_dyn_sized_stack, 0
	.set _ZN9rocsolver6v33100L12stein_kernelIffPfEEviPT0_lS4_lPiS4_lS5_lS5_lT1_iilS5_lS5_S4_S5_S3_S3_.has_recursion, 0
	.set _ZN9rocsolver6v33100L12stein_kernelIffPfEEviPT0_lS4_lPiS4_lS5_lS5_lT1_iilS5_lS5_S4_S5_S3_S3_.has_indirect_call, 0
	.section	.AMDGPU.csdata,"",@progbits
; Kernel info:
; codeLenInByte = 9896
; TotalNumSgprs: 106
; NumVgprs: 49
; NumAgprs: 0
; TotalNumVgprs: 49
; ScratchSize: 0
; MemoryBound: 0
; FloatMode: 240
; IeeeMode: 1
; LDSByteSize: 8 bytes/workgroup (compile time only)
; SGPRBlocks: 13
; VGPRBlocks: 6
; NumSGPRsForWavesPerEU: 106
; NumVGPRsForWavesPerEU: 49
; AccumOffset: 52
; Occupancy: 7
; WaveLimiterHint : 1
; COMPUTE_PGM_RSRC2:SCRATCH_EN: 0
; COMPUTE_PGM_RSRC2:USER_SGPR: 2
; COMPUTE_PGM_RSRC2:TRAP_HANDLER: 0
; COMPUTE_PGM_RSRC2:TGID_X_EN: 1
; COMPUTE_PGM_RSRC2:TGID_Y_EN: 1
; COMPUTE_PGM_RSRC2:TGID_Z_EN: 0
; COMPUTE_PGM_RSRC2:TIDIG_COMP_CNT: 0
; COMPUTE_PGM_RSRC3_GFX90A:ACCUM_OFFSET: 12
; COMPUTE_PGM_RSRC3_GFX90A:TG_SPLIT: 0
	.section	.text._ZN9rocsolver6v33100L12stein_kernelIddPdEEviPT0_lS4_lPiS4_lS5_lS5_lT1_iilS5_lS5_S4_S5_S3_S3_,"axG",@progbits,_ZN9rocsolver6v33100L12stein_kernelIddPdEEviPT0_lS4_lPiS4_lS5_lS5_lT1_iilS5_lS5_S4_S5_S3_S3_,comdat
	.globl	_ZN9rocsolver6v33100L12stein_kernelIddPdEEviPT0_lS4_lPiS4_lS5_lS5_lT1_iilS5_lS5_S4_S5_S3_S3_ ; -- Begin function _ZN9rocsolver6v33100L12stein_kernelIddPdEEviPT0_lS4_lPiS4_lS5_lS5_lT1_iilS5_lS5_S4_S5_S3_S3_
	.p2align	8
	.type	_ZN9rocsolver6v33100L12stein_kernelIddPdEEviPT0_lS4_lPiS4_lS5_lS5_lT1_iilS5_lS5_S4_S5_S3_S3_,@function
_ZN9rocsolver6v33100L12stein_kernelIddPdEEviPT0_lS4_lPiS4_lS5_lS5_lT1_iilS5_lS5_S4_S5_S3_S3_: ; @_ZN9rocsolver6v33100L12stein_kernelIddPdEEviPT0_lS4_lPiS4_lS5_lS5_lT1_iilS5_lS5_S4_S5_S3_S3_
; %bb.0:
	s_load_dwordx16 s[8:23], s[0:1], 0x8
	s_mov_b32 s4, s3
	s_ashr_i32 s5, s3, 31
	s_lshl_b64 s[6:7], s[4:5], 2
	s_waitcnt lgkmcnt(0)
	s_add_u32 s2, s16, s6
	s_addc_u32 s3, s17, s7
	s_load_dword s58, s[2:3], 0x0
	s_waitcnt lgkmcnt(0)
	s_cmp_lt_i32 s58, 1
	s_cbranch_scc1 .LBB2_248
; %bb.1:
	s_load_dwordx16 s[36:51], s[0:1], 0x70
                                        ; implicit-def: $vgpr64 : SGPR spill to VGPR lane
	s_mov_b64 s[72:73], 0
	v_writelane_b32 v64, s6, 0
	s_waitcnt lgkmcnt(0)
	s_cmp_eq_u64 s[38:39], 0
	v_writelane_b32 v64, s7, 1
	s_cbranch_scc1 .LBB2_3
; %bb.2:
	s_mul_i32 s2, s40, s5
	s_mul_hi_u32 s3, s40, s4
	s_add_i32 s2, s3, s2
	s_mul_i32 s3, s41, s4
	s_add_i32 s3, s2, s3
	s_mul_i32 s2, s40, s4
	s_lshl_b64 s[2:3], s[2:3], 2
	s_add_u32 s72, s38, s2
	s_addc_u32 s73, s39, s3
.LBB2_3:
	v_cmp_eq_u32_e64 s[16:17], 0, v0
	s_and_saveexec_b64 s[2:3], s[16:17]
; %bb.4:
	v_mov_b32_e32 v1, 0
	ds_write_b32 v1, v1
; %bb.5:
	s_or_b64 exec, exec, s[2:3]
	s_cmp_lg_u64 s[72:73], 0
	s_cselect_b64 s[2:3], -1, 0
	v_cmp_gt_u32_e32 vcc, s58, v0
	s_and_b64 s[24:25], vcc, s[2:3]
	s_and_saveexec_b64 s[6:7], s[24:25]
	s_cbranch_execz .LBB2_13
; %bb.6:
	v_xad_u32 v1, v0, -1, s58
	s_movk_i32 s24, 0xff
	v_cmp_lt_u32_e32 vcc, s24, v1
	s_mov_b64 s[26:27], -1
	v_mov_b32_e32 v2, v0
	s_and_saveexec_b64 s[24:25], vcc
	s_cbranch_execz .LBB2_10
; %bb.7:
	v_lshrrev_b32_e32 v1, 8, v1
	v_add_u32_e32 v6, 1, v1
	v_and_b32_e32 v7, 0x1fffffe, v6
	v_or_b32_e32 v1, 0x100, v0
	s_mov_b64 s[26:27], 0
	v_mov_b32_e32 v3, 0
	v_mov_b32_e32 v8, v7
	v_mov_b64_e32 v[4:5], v[0:1]
.LBB2_8:                                ; =>This Inner Loop Header: Depth=1
	v_mov_b32_e32 v2, v4
	v_add_u32_e32 v8, -2, v8
	v_lshl_add_u64 v[10:11], v[2:3], 2, s[72:73]
	v_mov_b32_e32 v2, v5
	v_cmp_eq_u32_e32 vcc, 0, v8
	v_add_u32_e32 v4, 0x200, v4
	v_add_u32_e32 v5, 0x200, v5
	v_lshl_add_u64 v[12:13], v[2:3], 2, s[72:73]
	s_or_b64 s[26:27], vcc, s[26:27]
	global_store_dword v[10:11], v3, off
	global_store_dword v[12:13], v3, off
	s_andn2_b64 exec, exec, s[26:27]
	s_cbranch_execnz .LBB2_8
; %bb.9:
	s_or_b64 exec, exec, s[26:27]
	v_cmp_ne_u32_e32 vcc, v6, v7
	v_lshl_or_b32 v2, v7, 8, v0
	s_orn2_b64 s[26:27], vcc, exec
.LBB2_10:
	s_or_b64 exec, exec, s[24:25]
	s_and_b64 exec, exec, s[26:27]
	s_cbranch_execz .LBB2_13
; %bb.11:
	v_mov_b32_e32 v3, 0
	v_lshl_add_u64 v[4:5], v[2:3], 2, s[72:73]
	s_mov_b64 s[24:25], 0
	s_mov_b64 s[26:27], 0x400
.LBB2_12:                               ; =>This Inner Loop Header: Depth=1
	v_add_u32_e32 v2, 0x100, v2
	v_cmp_le_i32_e32 vcc, s58, v2
	global_store_dword v[4:5], v3, off
	s_or_b64 s[24:25], vcc, s[24:25]
	v_lshl_add_u64 v[4:5], v[4:5], 0, s[26:27]
	s_andn2_b64 exec, exec, s[24:25]
	s_cbranch_execnz .LBB2_12
.LBB2_13:
	s_or_b64 exec, exec, s[6:7]
	s_load_dwordx8 s[24:31], s[0:1], 0x48
	s_mov_b32 s39, 0
	s_mov_b32 s59, s39
	v_mov_b32_e32 v3, 0
	s_waitcnt lgkmcnt(0)
	s_mul_i32 s7, s24, s5
	s_mul_hi_u32 s33, s24, s4
	s_mul_i32 s25, s25, s4
	s_add_i32 s7, s33, s7
	s_mul_i32 s6, s24, s4
	s_add_i32 s7, s7, s25
	s_lshl_b64 s[6:7], s[6:7], 2
	s_add_u32 s33, s22, s6
	s_addc_u32 s56, s23, s7
	s_lshl_b64 s[6:7], s[58:59], 2
	s_add_u32 s6, s33, s6
	s_addc_u32 s7, s56, s7
	v_writelane_b32 v64, s6, 2
	s_nop 1
	v_writelane_b32 v64, s7, 3
	s_nop 1
	global_load_dword v22, v3, s[6:7] offset:-4
	s_waitcnt vmcnt(0)
	v_cmp_gt_i32_e32 vcc, 1, v22
	s_cbranch_vccnz .LBB2_246
; %bb.14:
	s_load_dword s24, s[0:1], 0x0
	s_load_dwordx2 s[40:41], s[0:1], 0x68
	s_mul_i32 s6, s10, s5
	s_mul_hi_u32 s7, s10, s4
	s_add_i32 s0, s7, s6
	s_mul_i32 s1, s11, s4
	s_add_i32 s1, s0, s1
	s_mul_i32 s0, s10, s4
	s_waitcnt lgkmcnt(0)
	s_ashr_i32 s25, s24, 31
	s_lshl_b64 s[0:1], s[0:1], 3
	s_add_u32 s34, s8, s0
	s_addc_u32 s35, s9, s1
	s_mul_i32 s0, s14, s5
	s_mul_hi_u32 s1, s14, s4
	s_add_i32 s0, s1, s0
	s_mul_i32 s1, s15, s4
	s_add_i32 s1, s0, s1
	s_mul_i32 s0, s14, s4
	s_lshl_b64 s[0:1], s[0:1], 3
	s_add_u32 s54, s12, s0
	s_addc_u32 s55, s13, s1
	s_mul_i32 s0, s20, s5
	s_mul_hi_u32 s1, s20, s4
	s_add_i32 s0, s1, s0
	s_mul_i32 s1, s21, s4
	s_add_i32 s1, s0, s1
	s_mul_i32 s0, s20, s4
	;; [unrolled: 9-line block ×3, first 2 shown]
	s_lshl_b64 s[0:1], s[0:1], 2
	s_add_u32 s23, s26, s0
	s_mul_i32 s22, s24, 5
	s_addc_u32 s0, s27, s1
	v_writelane_b32 v64, s0, 4
	s_mul_hi_i32 s1, s22, s4
	s_mul_i32 s0, s22, s4
	s_lshl_b64 s[6:7], s[0:1], 3
	s_add_u32 s20, s44, s6
	s_mul_hi_i32 s9, s24, s4
	s_mul_i32 s8, s24, s4
	s_addc_u32 s21, s45, s7
	s_lshl_b64 s[8:9], s[8:9], 2
	s_add_u32 s66, s46, s8
	s_mul_i32 s5, s36, s5
	s_mul_hi_u32 s10, s36, s4
	s_addc_u32 s67, s47, s9
	s_add_i32 s5, s10, s5
	s_mul_i32 s10, s37, s4
	s_add_i32 s5, s5, s10
	s_mul_i32 s4, s36, s4
	s_ashr_i32 s9, s40, 31
	s_lshl_b64 s[4:5], s[4:5], 3
	s_mov_b32 s8, s40
	s_add_u32 s10, s30, s4
	s_addc_u32 s11, s31, s5
	s_lshl_b64 s[4:5], s[8:9], 3
	s_add_u32 s28, s10, s4
	s_mul_i32 s14, s24, 3
	s_addc_u32 s29, s11, s5
	s_ashr_i32 s15, s14, 31
	s_lshl_b64 s[4:5], s[14:15], 3
	s_add_u32 s36, s20, s4
	s_addc_u32 s37, s21, s5
	s_lshl_b64 s[8:9], s[24:25], 4
	s_sub_u32 s40, 0, s8
	s_subb_u32 s64, 0, s9
	s_add_u32 s46, s36, s40
	s_addc_u32 s47, s37, s64
	s_lshl_b64 s[10:11], s[24:25], 3
	s_add_u32 s60, s46, s10
	s_addc_u32 s61, s47, s11
	s_add_u32 s62, s60, s8
	s_addc_u32 s63, s61, s9
	s_and_b64 s[2:3], s[16:17], s[2:3]
	v_writelane_b32 v64, s2, 5
	v_div_scale_f64 v[6:7], s[12:13], s[50:51], s[50:51], 1.0
	s_nop 0
	v_writelane_b32 v64, s3, 6
	s_add_u32 s2, s54, 8
	v_writelane_b32 v64, s2, 7
	s_addc_u32 s2, s55, 0
	v_writelane_b32 v64, s2, 8
	s_add_u32 s2, s34, 8
	v_writelane_b32 v64, s2, 9
	s_addc_u32 s2, s35, 0
	s_add_u32 s6, s6, s4
	s_addc_u32 s7, s7, s5
	v_writelane_b32 v64, s2, 10
	s_add_u32 s2, s44, s6
	s_addc_u32 s3, s45, s7
	s_lshl_b32 s65, s24, 1
	s_sub_u32 s4, s6, s8
	s_subb_u32 s5, s7, s9
	v_writelane_b32 v64, s4, 11
	s_add_u32 s0, s0, s14
	s_addc_u32 s1, s1, s15
	v_writelane_b32 v64, s5, 12
	s_mov_b32 s4, s14
	v_writelane_b32 v64, s4, 13
	v_rcp_f64_e32 v[8:9], v[6:7]
	v_lshlrev_b32_e32 v2, 3, v0
	v_writelane_b32 v64, s5, 14
	s_add_u32 s4, s0, s24
	s_addc_u32 s5, s1, s25
	s_lshl_b64 s[4:5], s[4:5], 3
	s_lshl_b64 s[0:1], s[0:1], 3
	v_writelane_b32 v64, s4, 15
	s_sub_u32 s0, s0, s10
	s_subb_u32 s1, s1, s11
	v_writelane_b32 v64, s5, 16
	v_writelane_b32 v64, s0, 17
	v_fma_f64 v[10:11], -v[6:7], v[8:9], 1.0
	v_fmac_f64_e32 v[8:9], v[8:9], v[10:11]
	v_writelane_b32 v64, s1, 18
	s_add_u32 s0, s6, 8
	s_addc_u32 s1, s7, 0
	v_fma_f64 v[10:11], -v[6:7], v[8:9], 1.0
	v_writelane_b32 v64, s0, 19
	v_fmac_f64_e32 v[8:9], v[8:9], v[10:11]
	v_div_scale_f64 v[10:11], vcc, 1.0, s[50:51], 1.0
	v_writelane_b32 v64, s1, 20
	v_mul_f64 v[12:13], v[10:11], v[8:9]
	v_writelane_b32 v64, s34, 21
	v_fma_f64 v[6:7], -v[6:7], v[12:13], v[10:11]
	v_div_fmas_f64 v[6:7], v[6:7], v[8:9], v[12:13]
	v_writelane_b32 v64, s35, 22
	v_add_u32_e32 v12, s24, v0
	s_add_u32 s74, s2, 16
	v_writelane_b32 v64, s54, 23
	v_ashrrev_i32_e32 v13, 31, v12
	s_addc_u32 s75, s3, 0
	v_writelane_b32 v64, s55, 24
	v_max_f64 v[4:5], s[48:49], s[48:49]
	v_add_u32_e32 v1, 8, v2
	v_lshlrev_b32_e32 v46, 2, v0
	s_movk_i32 s12, 0x80
	v_lshl_add_u64 v[12:13], v[12:13], 3, s[20:21]
	s_add_u32 s76, s20, 8
	s_mov_b32 s82, 0xff800000
	v_writelane_b32 v64, s23, 25
	v_max_f64 v[4:5], v[4:5], 0
	v_sub_u32_e32 v47, v1, v46
	v_div_fixup_f64 v[6:7], v[6:7], s[50:51], 1.0
	v_lshl_add_u64 v[8:9], s[20:21], 0, v[2:3]
	v_lshl_add_u64 v[10:11], s[2:3], 0, v[2:3]
	;; [unrolled: 1-line block ×3, first 2 shown]
	s_addc_u32 s77, s21, 0
	v_mov_b32_e32 v48, 0x260
	s_mov_b32 s83, 0x41dfffff
	v_mov_b32_e32 v49, 1
	v_mov_b32_e32 v15, 0x3ff00000
	;; [unrolled: 1-line block ×6, first 2 shown]
	v_cmp_gt_u32_e64 s[2:3], s12, v0
	s_brev_b32 s25, -2
	s_mov_b32 s88, 0
	v_cmp_gt_u32_e64 s[4:5], 64, v0
	v_cmp_gt_i32_e64 s[98:99], s24, v0
	s_mov_b64 s[86:87], 0x800
	s_mov_b32 s90, s39
	v_writelane_b32 v64, s58, 26
                                        ; implicit-def: $vgpr30_vgpr31
                                        ; implicit-def: $vgpr20_vgpr21
                                        ; implicit-def: $vgpr18_vgpr19
                                        ; implicit-def: $vgpr16_vgpr17
                                        ; implicit-def: $sgpr89
	s_nop 1
	v_writelane_b32 v64, s59, 27
	s_branch .LBB2_17
.LBB2_15:                               ;   in Loop: Header=BB2_17 Depth=1
	v_readlane_b32 s0, v64, 2
	v_readlane_b32 s1, v64, 3
	;; [unrolled: 1-line block ×4, first 2 shown]
	s_mov_b32 s88, s11
	v_readlane_b32 s35, v64, 22
	v_readlane_b32 s55, v64, 24
	global_load_dword v22, v3, s[0:1] offset:-4
	v_readlane_b32 s23, v64, 25
.LBB2_16:                               ;   in Loop: Header=BB2_17 Depth=1
	s_add_i32 s90, s90, 1
	s_waitcnt vmcnt(0)
	v_cmp_ge_i32_e32 vcc, s90, v22
	s_cbranch_vccnz .LBB2_246
.LBB2_17:                               ; =>This Loop Header: Depth=1
                                        ;     Child Loop BB2_22 Depth 2
                                        ;     Child Loop BB2_27 Depth 2
                                        ;       Child Loop BB2_37 Depth 3
                                        ;       Child Loop BB2_40 Depth 3
	;; [unrolled: 1-line block ×5, first 2 shown]
                                        ;         Child Loop BB2_109 Depth 4
                                        ;         Child Loop BB2_112 Depth 4
	;; [unrolled: 1-line block ×4, first 2 shown]
                                        ;           Child Loop BB2_128 Depth 5
                                        ;         Child Loop BB2_142 Depth 4
                                        ;           Child Loop BB2_143 Depth 5
                                        ;           Child Loop BB2_145 Depth 5
                                        ;         Child Loop BB2_150 Depth 4
                                        ;       Child Loop BB2_191 Depth 3
                                        ;       Child Loop BB2_228 Depth 3
	;; [unrolled: 1-line block ×4, first 2 shown]
	s_mov_b32 s92, 0
	s_cmp_eq_u32 s90, 0
	s_mov_b64 s[0:1], 0
	v_readlane_b32 s6, v64, 4
	s_cbranch_scc1 .LBB2_19
; %bb.18:                               ;   in Loop: Header=BB2_17 Depth=1
	s_mov_b32 s91, s39
	s_lshl_b64 s[0:1], s[90:91], 2
	s_add_u32 s0, s23, s0
	s_addc_u32 s1, s6, s1
	global_load_dword v2, v3, s[0:1] offset:-4
	s_mov_b64 s[0:1], s[90:91]
	s_waitcnt vmcnt(0)
	v_readfirstlane_b32 s92, v2
.LBB2_19:                               ;   in Loop: Header=BB2_17 Depth=1
	s_lshl_b64 s[0:1], s[0:1], 2
	s_add_u32 s0, s23, s0
	s_addc_u32 s1, s6, s1
	global_load_dword v2, v3, s[0:1]
	s_not_b32 s0, s92
	s_waitcnt vmcnt(0)
	v_readfirstlane_b32 s94, v2
	s_add_i32 s96, s0, s94
	s_cmp_lt_i32 s96, 1
	s_cselect_b64 s[52:53], -1, 0
	v_subrev_u32_e32 v51, s92, v2
	s_and_b64 vcc, exec, s[52:53]
	s_cbranch_vccnz .LBB2_24
; %bb.20:                               ;   in Loop: Header=BB2_17 Depth=1
	s_ashr_i32 s93, s92, 31
	s_lshl_b64 s[8:9], s[92:93], 3
	s_add_u32 s0, s34, s8
	s_addc_u32 s1, s35, s9
	s_add_u32 s12, s54, s8
	s_addc_u32 s13, s55, s9
	s_ashr_i32 s95, s94, 31
	s_lshl_b64 s[14:15], s[94:95], 3
	s_add_u32 s18, s34, s14
	s_addc_u32 s19, s35, s15
	s_add_i32 s10, s94, -2
	s_add_u32 s14, s54, s14
	s_addc_u32 s15, s55, s15
	global_load_dwordx2 v[16:17], v3, s[0:1]
	global_load_dwordx2 v[18:19], v3, s[12:13]
	global_load_dwordx2 v[20:21], v3, s[18:19] offset:-8
	global_load_dwordx2 v[24:25], v3, s[14:15] offset:-16
	s_cmp_ge_i32 s92, s10
	s_waitcnt vmcnt(2)
	v_add_f64 v[16:17], |v[16:17]|, |v[18:19]|
	s_waitcnt vmcnt(0)
	v_add_f64 v[20:21], |v[20:21]|, |v[24:25]|
	v_cmp_lt_f64_e32 vcc, v[16:17], v[20:21]
	s_nop 1
	v_cndmask_b32_e32 v17, v17, v21, vcc
	v_cndmask_b32_e32 v16, v16, v20, vcc
	s_cbranch_scc1 .LBB2_23
; %bb.21:                               ;   in Loop: Header=BB2_17 Depth=1
	v_readlane_b32 s0, v64, 7
	s_add_u32 s0, s0, s8
	v_readlane_b32 s1, v64, 8
	s_addc_u32 s1, s1, s9
	v_readlane_b32 s6, v64, 9
	s_add_u32 s8, s6, s8
	v_readlane_b32 s6, v64, 10
	s_addc_u32 s9, s6, s9
	s_mov_b32 s11, s92
.LBB2_22:                               ;   Parent Loop BB2_17 Depth=1
                                        ; =>  This Inner Loop Header: Depth=2
	global_load_dwordx2 v[20:21], v3, s[8:9]
	s_add_i32 s11, s11, 1
	s_waitcnt vmcnt(0)
	v_add_f64 v[20:21], |v[18:19]|, |v[20:21]|
	global_load_dwordx2 v[18:19], v3, s[0:1]
	s_add_u32 s0, s0, 8
	s_addc_u32 s1, s1, 0
	s_add_u32 s8, s8, 8
	s_addc_u32 s9, s9, 0
	s_cmp_lt_i32 s11, s10
	s_waitcnt vmcnt(0)
	v_add_f64 v[20:21], v[20:21], |v[18:19]|
	v_cmp_lt_f64_e32 vcc, v[16:17], v[20:21]
	s_nop 1
	v_cndmask_b32_e32 v17, v17, v21, vcc
	v_cndmask_b32_e32 v16, v16, v20, vcc
	s_cbranch_scc1 .LBB2_22
.LBB2_23:                               ;   in Loop: Header=BB2_17 Depth=1
	s_mov_b32 s6, 0x9999999a
	v_cvt_f64_u32_e32 v[18:19], v51
	s_mov_b32 s7, 0x3fb99999
	v_div_scale_f64 v[20:21], s[0:1], v[18:19], v[18:19], s[6:7]
	v_rcp_f64_e32 v[24:25], v[20:21]
	v_div_scale_f64 v[26:27], vcc, s[6:7], v[18:19], s[6:7]
	s_mov_b32 s0, 0
	v_fma_f64 v[28:29], -v[20:21], v[24:25], 1.0
	v_fmac_f64_e32 v[24:25], v[24:25], v[28:29]
	v_fma_f64 v[28:29], -v[20:21], v[24:25], 1.0
	v_fmac_f64_e32 v[24:25], v[24:25], v[28:29]
	v_mul_f64 v[28:29], v[26:27], v[24:25]
	v_fma_f64 v[20:21], -v[20:21], v[28:29], v[26:27]
	v_div_fmas_f64 v[20:21], v[20:21], v[24:25], v[28:29]
	v_div_fixup_f64 v[18:19], v[20:21], v[18:19], s[6:7]
	s_brev_b32 s1, 8
	v_cmp_gt_f64_e32 vcc, s[0:1], v[18:19]
	s_and_b64 s[0:1], vcc, exec
	s_cselect_b32 s0, 0x100, 0
	v_ldexp_f64 v[20:21], v[18:19], s0
	v_rsq_f64_e32 v[24:25], v[20:21]
	s_mov_b32 s0, 0xd2f1a9fc
	s_mov_b32 s1, 0x3f50624d
	v_mul_f64 v[18:19], v[16:17], s[0:1]
	v_mul_f64 v[26:27], v[20:21], v[24:25]
	v_mul_f64 v[24:25], v[24:25], 0.5
	v_fma_f64 v[28:29], -v[24:25], v[26:27], 0.5
	v_fmac_f64_e32 v[26:27], v[26:27], v[28:29]
	v_fma_f64 v[32:33], -v[26:27], v[26:27], v[20:21]
	v_fmac_f64_e32 v[24:25], v[24:25], v[28:29]
	v_fmac_f64_e32 v[26:27], v[32:33], v[24:25]
	v_fma_f64 v[28:29], -v[26:27], v[26:27], v[20:21]
	v_fmac_f64_e32 v[26:27], v[28:29], v[24:25]
	s_cselect_b32 s0, 0xffffff80, 0
	v_ldexp_f64 v[24:25], v[26:27], s0
	v_cmp_class_f64_e32 vcc, v[20:21], v48
	s_mov_b32 s89, s88
	s_nop 0
	v_cndmask_b32_e32 v21, v25, v21, vcc
	v_cndmask_b32_e32 v20, v24, v20, vcc
.LBB2_24:                               ;   in Loop: Header=BB2_17 Depth=1
	s_cmp_ge_i32 s88, s58
	s_cbranch_scc1 .LBB2_16
; %bb.25:                               ;   in Loop: Header=BB2_17 Depth=1
	v_cmp_gt_i32_e64 s[0:1], s96, v0
	s_ashr_i32 s95, s94, 31
	s_mov_b32 s97, s39
	v_writelane_b32 v64, s0, 28
	v_add_u32_e32 v24, s92, v0
	v_ashrrev_i32_e32 v25, 31, v24
	v_writelane_b32 v64, s1, 29
	s_lshl_b64 s[0:1], s[94:95], 3
	s_add_u32 s0, s34, s0
	s_addc_u32 s1, s35, s1
	v_writelane_b32 v64, s0, 30
	v_cvt_f64_u32_e32 v[22:23], v51
	v_lshlrev_b64 v[26:27], 3, v[24:25]
	v_writelane_b32 v64, s1, 31
	v_cmp_ge_i32_e64 s[8:9], s96, v0
	v_readlane_b32 s0, v64, 13
	v_readlane_b32 s1, v64, 14
	s_add_i32 s0, s96, s0
	s_ashr_i32 s1, s0, 31
	s_lshl_b64 s[0:1], s[0:1], 3
	s_add_u32 s78, s20, s0
	s_addc_u32 s79, s21, s1
	s_lshl_b64 s[0:1], s[96:97], 2
	s_add_u32 s22, s66, s0
	s_addc_u32 s23, s67, s1
	s_add_i32 s91, s96, -1
	s_lshl_b64 s[0:1], s[96:97], 3
	s_add_u32 s0, s36, s0
	s_addc_u32 s1, s37, s1
	v_writelane_b32 v64, s0, 32
	v_cmp_lt_u32_e64 s[12:13], v0, v51
	v_mul_f64 v[22:23], v[16:17], v[22:23]
	v_cmp_lt_u32_e64 s[14:15], 2, v51
	v_lshl_add_u64 v[24:25], s[34:35], 0, v[26:27]
	v_lshl_add_u64 v[26:27], s[54:55], 0, v[26:27]
	s_sub_i32 s93, s94, s92
	s_mov_b32 s97, 0
	s_sub_i32 s95, 0, s92
	s_mul_i32 s10, s41, s88
	s_mov_b32 s80, s88
	v_writelane_b32 v64, s1, 33
	s_branch .LBB2_27
.LBB2_26:                               ;   in Loop: Header=BB2_27 Depth=2
	s_or_b64 exec, exec, s[18:19]
	s_add_i32 s97, s97, 1
	s_add_i32 s80, s80, 1
	;; [unrolled: 1-line block ×3, first 2 shown]
	s_cmp_ge_i32 s80, s58
	s_barrier
	s_cselect_b64 s[0:1], -1, 0
	s_mov_b32 s11, s88
	s_and_b64 vcc, exec, s[0:1]
	s_cbranch_vccnz .LBB2_15
.LBB2_27:                               ;   Parent Loop BB2_17 Depth=1
                                        ; =>  This Loop Header: Depth=2
                                        ;       Child Loop BB2_37 Depth 3
                                        ;       Child Loop BB2_40 Depth 3
	;; [unrolled: 1-line block ×5, first 2 shown]
                                        ;         Child Loop BB2_109 Depth 4
                                        ;         Child Loop BB2_112 Depth 4
	;; [unrolled: 1-line block ×4, first 2 shown]
                                        ;           Child Loop BB2_128 Depth 5
                                        ;         Child Loop BB2_142 Depth 4
                                        ;           Child Loop BB2_143 Depth 5
                                        ;           Child Loop BB2_145 Depth 5
                                        ;         Child Loop BB2_150 Depth 4
                                        ;       Child Loop BB2_191 Depth 3
                                        ;       Child Loop BB2_228 Depth 3
	;; [unrolled: 1-line block ×4, first 2 shown]
	s_ashr_i32 s81, s80, 31
	s_lshl_b64 s[0:1], s[80:81], 2
	s_add_u32 s0, s33, s0
	s_addc_u32 s1, s56, s1
	global_load_dword v2, v3, s[0:1]
	s_mov_b64 s[0:1], -1
	s_waitcnt vmcnt(0)
	v_add_u32_e32 v2, -1, v2
	v_cmp_ne_u32_e32 vcc, s90, v2
	s_cbranch_vccnz .LBB2_31
; %bb.28:                               ;   in Loop: Header=BB2_27 Depth=2
	s_lshl_b64 s[0:1], s[80:81], 3
	s_add_u32 s0, s71, s0
	s_addc_u32 s1, s57, s1
	global_load_dwordx2 v[28:29], v3, s[0:1]
	s_mov_b64 s[0:1], -1
	s_and_b64 vcc, exec, s[52:53]
	s_cbranch_vccnz .LBB2_32
; %bb.29:                               ;   in Loop: Header=BB2_27 Depth=2
	s_and_b64 vcc, exec, s[0:1]
	s_cbranch_vccnz .LBB2_35
.LBB2_30:                               ;   in Loop: Header=BB2_27 Depth=2
	s_waitcnt vmcnt(0)
	v_mov_b64_e32 v[30:31], v[28:29]
	s_and_saveexec_b64 s[18:19], s[98:99]
	s_cbranch_execz .LBB2_26
	s_branch .LBB2_242
.LBB2_31:                               ;   in Loop: Header=BB2_27 Depth=2
	s_mov_b32 s11, s80
                                        ; implicit-def: $sgpr97
                                        ; implicit-def: $sgpr10
	s_and_b64 vcc, exec, s[0:1]
	s_cbranch_vccz .LBB2_27
	s_branch .LBB2_15
.LBB2_32:                               ;   in Loop: Header=BB2_27 Depth=2
	s_and_saveexec_b64 s[0:1], s[16:17]
	s_cbranch_execz .LBB2_34
; %bb.33:                               ;   in Loop: Header=BB2_27 Depth=2
	global_store_dwordx2 v3, v[14:15], s[20:21]
.LBB2_34:                               ;   in Loop: Header=BB2_27 Depth=2
	s_or_b64 exec, exec, s[0:1]
	s_barrier
	s_branch .LBB2_30
.LBB2_35:                               ;   in Loop: Header=BB2_27 Depth=2
	s_and_saveexec_b64 s[0:1], s[8:9]
	s_cbranch_execz .LBB2_38
; %bb.36:                               ;   in Loop: Header=BB2_27 Depth=2
	s_mul_i32 s11, s90, s58
	s_add_i32 s11, s80, s11
	v_lshl_or_b32 v32, s11, 8, v0
	v_sub_u32_e32 v2, 0x7ffffffe, v32
	v_sub_u32_e32 v33, 0xf7, v32
	s_mov_b32 s11, 0x7fffff07
	v_max_u32_e32 v33, 1, v33
	v_cmp_gt_u32_e32 vcc, s11, v2
	s_mov_b32 s11, 0x7ffffffe
	s_mov_b64 s[18:19], 0
	v_cndmask_b32_e32 v2, v33, v2, vcc
	v_cmp_ne_u32_e32 vcc, s11, v32
	v_add_u32_e32 v32, 1, v32
	s_mov_b32 s11, 0x40000001
	v_mul_hi_i32 v33, v32, s11
	v_lshrrev_b32_e32 v34, 31, v33
	v_ashrrev_i32_e32 v33, 29, v33
	v_add_u32_e32 v33, v33, v34
	v_mul_lo_u32 v33, v33, s25
	v_sub_u32_e32 v32, v32, v33
	v_cndmask_b32_e32 v2, 1, v2, vcc
	v_max_i32_e32 v35, 1, v32
	v_mov_b64_e32 v[32:33], v[8:9]
	v_mov_b32_e32 v34, v0
.LBB2_37:                               ;   Parent Loop BB2_17 Depth=1
                                        ;     Parent Loop BB2_27 Depth=2
                                        ; =>    This Inner Loop Header: Depth=3
	s_mov_b32 s11, 0x5e4789c9
	s_mov_b32 s26, 0x4f7a09cd
	v_mul_hi_i32 v36, v35, s11
	v_mul_hi_i32 v37, v2, s26
	v_lshrrev_b32_e32 v38, 31, v36
	v_ashrrev_i32_e32 v36, 14, v36
	v_lshrrev_b32_e32 v39, 31, v37
	v_ashrrev_i32_e32 v37, 14, v37
	v_add_u32_e32 v36, v36, v38
	v_add_u32_e32 v37, v37, v39
	v_mul_i32_i24_e32 v38, 0xadc8, v36
	v_mul_i32_i24_e32 v39, 0xce26, v37
	s_mov_b32 s27, 0xbc8f
	s_mov_b32 s30, 0x9ef4
	v_sub_u32_e32 v35, v35, v38
	v_sub_u32_e32 v2, v2, v39
	s_movk_i32 s31, 0xf2b9
	s_movk_i32 s34, 0xf131
	v_mul_lo_u32 v35, v35, s27
	v_mul_lo_u32 v2, v2, s30
	v_mad_i32_i24 v35, v36, s31, v35
	v_mad_i32_i24 v2, v37, s34, v2
	v_ashrrev_i32_e32 v36, 31, v35
	v_ashrrev_i32_e32 v37, 31, v2
	v_and_b32_e32 v36, 0x7fffffff, v36
	v_and_b32_e32 v37, 0x7fffff07, v37
	v_add_u32_e32 v35, v36, v35
	v_add_u32_e32 v2, v37, v2
	v_sub_u32_e32 v36, v35, v2
	v_ashrrev_i32_e32 v37, 31, v36
	v_and_b32_e32 v37, 0x7fffffff, v37
	v_add_u32_e32 v36, v37, v36
	v_cvt_f64_i32_e32 v[36:37], v36
	v_div_scale_f64 v[38:39], s[26:27], s[82:83], s[82:83], v[36:37]
	v_rcp_f64_e32 v[40:41], v[38:39]
	v_add_u32_e32 v34, 0x100, v34
	v_cmp_lt_i32_e32 vcc, s96, v34
	s_or_b64 s[18:19], vcc, s[18:19]
	v_fma_f64 v[44:45], -v[38:39], v[40:41], 1.0
	v_fmac_f64_e32 v[40:41], v[40:41], v[44:45]
	v_fma_f64 v[44:45], -v[38:39], v[40:41], 1.0
	v_div_scale_f64 v[42:43], vcc, v[36:37], s[82:83], v[36:37]
	v_fmac_f64_e32 v[40:41], v[40:41], v[44:45]
	v_mul_f64 v[44:45], v[42:43], v[40:41]
	v_fma_f64 v[38:39], -v[38:39], v[44:45], v[42:43]
	s_nop 0
	v_div_fmas_f64 v[38:39], v[38:39], v[40:41], v[44:45]
	v_div_fixup_f64 v[36:37], v[38:39], s[82:83], v[36:37]
	global_store_dwordx2 v[32:33], v[36:37], off
	v_lshl_add_u64 v[32:33], v[32:33], 0, s[86:87]
	s_andn2_b64 exec, exec, s[18:19]
	s_cbranch_execnz .LBB2_37
.LBB2_38:                               ;   in Loop: Header=BB2_27 Depth=2
	s_or_b64 exec, exec, s[0:1]
	v_readlane_b32 s6, v64, 28
	v_readlane_b32 s7, v64, 29
	s_and_saveexec_b64 s[0:1], s[6:7]
	s_cbranch_execz .LBB2_41
; %bb.39:                               ;   in Loop: Header=BB2_27 Depth=2
	s_mov_b64 s[18:19], 0
	v_mov_b64_e32 v[32:33], v[26:27]
	v_mov_b64_e32 v[34:35], v[24:25]
	;; [unrolled: 1-line block ×4, first 2 shown]
	v_mov_b32_e32 v2, v0
.LBB2_40:                               ;   Parent Loop BB2_17 Depth=1
                                        ;     Parent Loop BB2_27 Depth=2
                                        ; =>    This Inner Loop Header: Depth=3
	global_load_dwordx2 v[40:41], v[34:35], off
	v_add_u32_e32 v42, s65, v2
	v_add_u32_e32 v2, 0x100, v2
	v_ashrrev_i32_e32 v43, 31, v42
	v_cmp_le_i32_e32 vcc, s96, v2
	v_lshl_add_u64 v[42:43], v[42:43], 3, s[20:21]
	v_lshl_add_u64 v[34:35], v[34:35], 0, s[86:87]
	s_or_b64 s[18:19], vcc, s[18:19]
	s_waitcnt vmcnt(0)
	global_store_dwordx2 v[38:39], v[40:41], off
	global_load_dwordx2 v[40:41], v[32:33], off
	v_lshl_add_u64 v[38:39], v[38:39], 0, s[86:87]
	v_lshl_add_u64 v[32:33], v[32:33], 0, s[86:87]
	s_waitcnt vmcnt(0)
	global_store_dwordx2 v[42:43], v[40:41], off
	global_store_dwordx2 v[36:37], v[40:41], off
	v_lshl_add_u64 v[36:37], v[36:37], 0, s[86:87]
	s_andn2_b64 exec, exec, s[18:19]
	s_cbranch_execnz .LBB2_40
.LBB2_41:                               ;   in Loop: Header=BB2_27 Depth=2
	s_or_b64 exec, exec, s[0:1]
	s_and_saveexec_b64 s[0:1], s[16:17]
	s_cbranch_execz .LBB2_43
; %bb.42:                               ;   in Loop: Header=BB2_27 Depth=2
	v_readlane_b32 s6, v64, 30
	v_readlane_b32 s7, v64, 31
	s_nop 4
	global_load_dwordx2 v[32:33], v3, s[6:7] offset:-8
	s_waitcnt vmcnt(0)
	global_store_dwordx2 v3, v[32:33], s[78:79]
.LBB2_43:                               ;   in Loop: Header=BB2_27 Depth=2
	s_or_b64 exec, exec, s[0:1]
	s_mov_b32 s0, 0
	s_waitcnt vmcnt(0)
	v_mul_f64 v[32:33], s[48:49], v[28:29]
	s_mov_b32 s1, 0x40240000
	s_cmp_lg_u32 s97, 0
	v_mul_f64 v[34:35], |v[32:33]|, s[0:1]
	v_add_f64 v[36:37], v[28:29], -v[30:31]
	s_cselect_b64 s[84:85], -1, 0
	v_fma_f64 v[32:33], |v[32:33]|, s[0:1], v[30:31]
	v_cmp_lt_f64_e32 vcc, v[36:37], v[34:35]
	s_cmp_eq_u32 s97, 0
	s_nop 0
	v_cndmask_b32_e32 v2, v28, v32, vcc
	v_cndmask_b32_e32 v32, v29, v33, vcc
	s_cselect_b64 vcc, -1, 0
	v_cndmask_b32_e32 v29, v32, v29, vcc
	v_cndmask_b32_e32 v28, v2, v28, vcc
	s_barrier
	s_and_saveexec_b64 s[0:1], s[16:17]
	s_cbranch_execz .LBB2_70
; %bb.44:                               ;   in Loop: Header=BB2_27 Depth=2
	global_load_dwordx2 v[32:33], v3, s[36:37]
	s_mov_b32 s38, s71
	s_mov_b64 s[6:7], s[72:73]
	v_readlane_b32 s18, v64, 19
	v_readlane_b32 s68, v64, 17
	;; [unrolled: 1-line block ×4, first 2 shown]
	s_mov_b32 s11, 1
	v_readlane_b32 s19, v64, 20
	v_readlane_b32 s69, v64, 18
	s_mov_b64 s[26:27], s[66:67]
	v_readlane_b32 s71, v64, 16
	v_readlane_b32 s73, v64, 12
	global_store_dword v3, v3, s[22:23]
	s_waitcnt vmcnt(1)
	v_add_f64 v[32:33], v[32:33], -v[28:29]
	global_store_dwordx2 v3, v[32:33], s[36:37]
	global_load_dwordx2 v[34:35], v3, s[46:47] offset:8
	s_waitcnt vmcnt(0)
	v_add_f64 v[32:33], |v[32:33]|, |v[34:35]|
	s_branch .LBB2_46
.LBB2_45:                               ;   in Loop: Header=BB2_46 Depth=3
	s_add_u32 s72, s72, 8
	s_addc_u32 s73, s73, 0
	s_add_u32 s70, s70, 8
	s_addc_u32 s71, s71, 0
	;; [unrolled: 2-line block ×4, first 2 shown]
	s_add_i32 s11, s11, 1
	s_add_u32 s18, s18, 8
	s_addc_u32 s19, s19, 0
	s_cmp_eq_u32 s93, s11
	s_cbranch_scc1 .LBB2_67
.LBB2_46:                               ;   Parent Loop BB2_17 Depth=1
                                        ;     Parent Loop BB2_27 Depth=2
                                        ; =>    This Inner Loop Header: Depth=3
	s_add_i32 s30, s11, -1
	s_add_u32 s34, s44, s18
	s_addc_u32 s35, s45, s19
	global_load_dwordx2 v[34:35], v3, s[34:35]
	s_add_u32 s58, s44, s68
	s_addc_u32 s59, s45, s69
	s_cmp_lt_u32 s30, s91
	s_cselect_b64 s[54:55], -1, 0
	s_cmp_ge_u32 s30, s91
	s_waitcnt vmcnt(0)
	v_add_f64 v[38:39], v[34:35], -v[28:29]
	global_store_dwordx2 v3, v[38:39], s[34:35]
	global_load_dwordx2 v[40:41], v3, s[58:59]
	s_waitcnt vmcnt(0)
	v_add_f64 v[34:35], |v[38:39]|, |v[40:41]|
	s_cbranch_scc1 .LBB2_48
; %bb.47:                               ;   in Loop: Header=BB2_46 Depth=3
	s_add_u32 s30, s44, s72
	s_addc_u32 s31, s45, s73
	global_load_dwordx2 v[36:37], v3, s[30:31] offset:16
	s_waitcnt vmcnt(0)
	v_add_f64 v[34:35], v[34:35], |v[36:37]|
.LBB2_48:                               ;   in Loop: Header=BB2_46 Depth=3
	global_load_dwordx2 v[42:43], v3, s[34:35] offset:-8
	s_waitcnt vmcnt(0)
	v_cmp_eq_f64_e32 vcc, 0, v[42:43]
	s_cbranch_vccnz .LBB2_59
; %bb.49:                               ;   in Loop: Header=BB2_46 Depth=3
	v_and_b32_e32 v37, 0x7fffffff, v43
	v_mov_b32_e32 v36, v42
	v_div_scale_f64 v[44:45], s[30:31], v[32:33], v[32:33], v[36:37]
	v_rcp_f64_e32 v[54:55], v[44:45]
	v_div_scale_f64 v[36:37], vcc, v[36:37], v[32:33], v[36:37]
	v_fma_f64 v[56:57], -v[44:45], v[54:55], 1.0
	v_fmac_f64_e32 v[54:55], v[54:55], v[56:57]
	v_fma_f64 v[56:57], -v[44:45], v[54:55], 1.0
	v_fmac_f64_e32 v[54:55], v[54:55], v[56:57]
	v_mul_f64 v[56:57], v[36:37], v[54:55]
	v_fma_f64 v[36:37], -v[44:45], v[56:57], v[36:37]
	v_div_fmas_f64 v[36:37], v[36:37], v[54:55], v[56:57]
	v_div_fixup_f64 v[36:37], v[36:37], v[32:33], |v[42:43]|
	v_cmp_neq_f64_e32 vcc, 0, v[40:41]
	s_cbranch_vccz .LBB2_60
.LBB2_50:                               ;   in Loop: Header=BB2_46 Depth=3
	v_and_b32_e32 v45, 0x7fffffff, v41
	v_mov_b32_e32 v44, v40
	v_div_scale_f64 v[54:55], s[30:31], v[34:35], v[34:35], v[44:45]
	v_rcp_f64_e32 v[56:57], v[54:55]
	v_div_scale_f64 v[44:45], vcc, v[44:45], v[34:35], v[44:45]
	s_mov_b64 s[30:31], -1
	v_fma_f64 v[58:59], -v[54:55], v[56:57], 1.0
	v_fmac_f64_e32 v[56:57], v[56:57], v[58:59]
	v_fma_f64 v[58:59], -v[54:55], v[56:57], 1.0
	v_fmac_f64_e32 v[56:57], v[56:57], v[58:59]
	v_mul_f64 v[58:59], v[44:45], v[56:57]
	v_fma_f64 v[44:45], -v[54:55], v[58:59], v[44:45]
	v_div_fmas_f64 v[44:45], v[44:45], v[56:57], v[58:59]
	v_div_fixup_f64 v[44:45], v[44:45], v[34:35], |v[40:41]|
	v_cmp_nle_f64_e32 vcc, v[44:45], v[36:37]
	s_cbranch_vccnz .LBB2_54
; %bb.51:                               ;   in Loop: Header=BB2_46 Depth=3
	v_div_scale_f64 v[54:55], s[30:31], v[42:43], v[42:43], v[40:41]
	v_rcp_f64_e32 v[56:57], v[54:55]
	v_div_scale_f64 v[58:59], vcc, v[40:41], v[42:43], v[40:41]
	s_add_u32 s30, s44, s72
	v_fma_f64 v[60:61], -v[54:55], v[56:57], 1.0
	v_fmac_f64_e32 v[56:57], v[56:57], v[60:61]
	v_fma_f64 v[60:61], -v[54:55], v[56:57], 1.0
	v_fmac_f64_e32 v[56:57], v[56:57], v[60:61]
	v_mul_f64 v[60:61], v[58:59], v[56:57]
	v_fma_f64 v[54:55], -v[54:55], v[60:61], v[58:59]
	v_div_fmas_f64 v[54:55], v[54:55], v[56:57], v[60:61]
	v_div_fixup_f64 v[54:55], v[54:55], v[42:43], v[40:41]
	global_store_dwordx2 v3, v[54:55], s[58:59]
	s_addc_u32 s31, s45, s73
	global_load_dwordx2 v[56:57], v3, s[34:35]
	global_load_dwordx2 v[58:59], v3, s[30:31] offset:8
	s_andn2_b64 vcc, exec, s[54:55]
	global_store_dword v3, v3, s[26:27]
	s_waitcnt vmcnt(1)
	v_fma_f64 v[54:55], -v[54:55], v[58:59], v[56:57]
	global_store_dwordx2 v3, v[54:55], s[34:35]
	s_cbranch_vccnz .LBB2_53
; %bb.52:                               ;   in Loop: Header=BB2_46 Depth=3
	s_add_u32 s30, s44, s70
	s_addc_u32 s31, s45, s71
	global_store_dwordx2 v3, v[52:53], s[30:31]
.LBB2_53:                               ;   in Loop: Header=BB2_46 Depth=3
	s_mov_b64 s[30:31], 0
.LBB2_54:                               ;   in Loop: Header=BB2_46 Depth=3
	s_andn2_b64 vcc, exec, s[30:31]
	v_mov_b64_e32 v[54:55], v[34:35]
	s_cbranch_vccnz .LBB2_58
; %bb.55:                               ;   in Loop: Header=BB2_46 Depth=3
	s_add_u32 s30, s44, s72
	global_store_dwordx2 v3, v[40:41], s[34:35] offset:-8
	s_addc_u32 s31, s45, s73
	global_load_dwordx2 v[54:55], v3, s[30:31] offset:8
	v_div_scale_f64 v[56:57], vcc, v[40:41], v[40:41], v[42:43]
	v_rcp_f64_e32 v[58:59], v[56:57]
	v_div_scale_f64 v[60:61], vcc, v[42:43], v[40:41], v[42:43]
	global_store_dword v3, v49, s[26:27]
	v_fma_f64 v[62:63], -v[56:57], v[58:59], 1.0
	v_fmac_f64_e32 v[58:59], v[58:59], v[62:63]
	v_fma_f64 v[62:63], -v[56:57], v[58:59], 1.0
	v_fmac_f64_e32 v[58:59], v[58:59], v[62:63]
	v_mul_f64 v[62:63], v[60:61], v[58:59]
	v_fma_f64 v[56:57], -v[56:57], v[62:63], v[60:61]
	v_div_fmas_f64 v[56:57], v[56:57], v[58:59], v[62:63]
	v_div_fixup_f64 v[40:41], v[56:57], v[40:41], v[42:43]
	s_andn2_b64 vcc, exec, s[54:55]
	s_waitcnt vmcnt(1)
	v_fma_f64 v[42:43], -v[38:39], v[40:41], v[54:55]
	global_store_dwordx2 v3, v[42:43], s[34:35]
	s_cbranch_vccnz .LBB2_57
; %bb.56:                               ;   in Loop: Header=BB2_46 Depth=3
	global_load_dwordx2 v[42:43], v3, s[30:31] offset:16
	s_add_u32 s34, s44, s70
	s_addc_u32 s35, s45, s71
	s_waitcnt vmcnt(0)
	global_store_dwordx2 v3, v[42:43], s[34:35]
	v_mul_f64 v[42:43], v[42:43], -v[40:41]
	global_store_dwordx2 v3, v[42:43], s[30:31] offset:16
.LBB2_57:                               ;   in Loop: Header=BB2_46 Depth=3
	v_mov_b64_e32 v[54:55], v[32:33]
	global_store_dwordx2 v3, v[38:39], s[30:31] offset:8
	global_store_dwordx2 v3, v[40:41], s[58:59]
.LBB2_58:                               ;   in Loop: Header=BB2_46 Depth=3
	v_mov_b64_e32 v[32:33], v[54:55]
	s_cbranch_execz .LBB2_61
	s_branch .LBB2_64
.LBB2_59:                               ;   in Loop: Header=BB2_46 Depth=3
	v_mov_b64_e32 v[36:37], 0
	v_cmp_neq_f64_e32 vcc, 0, v[40:41]
	s_cbranch_vccnz .LBB2_50
.LBB2_60:                               ;   in Loop: Header=BB2_46 Depth=3
                                        ; implicit-def: $vgpr44_vgpr45
                                        ; implicit-def: $vgpr32_vgpr33
.LBB2_61:                               ;   in Loop: Header=BB2_46 Depth=3
	s_andn2_b64 vcc, exec, s[54:55]
	global_store_dword v3, v3, s[26:27]
	s_cbranch_vccnz .LBB2_63
; %bb.62:                               ;   in Loop: Header=BB2_46 Depth=3
	s_add_u32 s30, s44, s70
	s_addc_u32 s31, s45, s71
	global_store_dwordx2 v3, v[52:53], s[30:31]
.LBB2_63:                               ;   in Loop: Header=BB2_46 Depth=3
	v_mov_b64_e32 v[44:45], 0
	v_mov_b64_e32 v[32:33], v[34:35]
.LBB2_64:                               ;   in Loop: Header=BB2_46 Depth=3
	v_max_f64 v[34:35], v[44:45], v[44:45]
	v_max_f64 v[36:37], v[36:37], v[36:37]
	;; [unrolled: 1-line block ×3, first 2 shown]
	v_cmp_nle_f64_e32 vcc, v[34:35], v[4:5]
	s_cbranch_vccnz .LBB2_45
; %bb.65:                               ;   in Loop: Header=BB2_46 Depth=3
	global_load_dword v2, v3, s[22:23]
	s_waitcnt vmcnt(0)
	v_cmp_ne_u32_e32 vcc, 0, v2
	s_cbranch_vccnz .LBB2_45
; %bb.66:                               ;   in Loop: Header=BB2_46 Depth=3
	v_mov_b32_e32 v2, s11
	global_store_dword v3, v2, s[22:23]
	s_branch .LBB2_45
.LBB2_67:                               ;   in Loop: Header=BB2_27 Depth=2
	v_readlane_b32 s18, v64, 32
	v_readlane_b32 s19, v64, 33
	v_mul_f64 v[32:33], v[4:5], v[32:33]
	s_mov_b64 s[72:73], s[6:7]
	s_mov_b32 s71, s38
	s_nop 1
	global_load_dwordx2 v[34:35], v3, s[18:19]
	s_waitcnt vmcnt(0)
	v_cmp_le_f64_e64 s[18:19], |v[34:35]|, v[32:33]
	s_and_b64 vcc, exec, s[18:19]
	s_cbranch_vccz .LBB2_70
; %bb.68:                               ;   in Loop: Header=BB2_27 Depth=2
	global_load_dword v2, v3, s[22:23]
	s_waitcnt vmcnt(0)
	v_cmp_ne_u32_e32 vcc, 0, v2
	s_cbranch_vccnz .LBB2_70
; %bb.69:                               ;   in Loop: Header=BB2_27 Depth=2
	global_store_dword v3, v51, s[22:23]
.LBB2_70:                               ;   in Loop: Header=BB2_27 Depth=2
	s_or_b64 exec, exec, s[0:1]
	v_add_f64 v[30:31], v[28:29], -v[30:31]
	v_cmp_gt_f64_e64 s[68:69], |v[30:31]|, v[18:19]
	s_mov_b32 s11, 0
	s_mov_b32 s54, 0
	v_mov_b64_e32 v[30:31], 0
	v_bfrev_b32_e32 v2, -2
	s_and_saveexec_b64 s[18:19], s[12:13]
	s_cbranch_execz .LBB2_74
.LBB2_71:                               ;   in Loop: Header=BB2_27 Depth=2
	v_mov_b64_e32 v[30:31], 0
	v_bfrev_b32_e32 v2, -2
	s_mov_b64 s[26:27], 0
	v_mov_b64_e32 v[32:33], v[8:9]
	v_mov_b32_e32 v34, v0
.LBB2_72:                               ;   Parent Loop BB2_17 Depth=1
                                        ;     Parent Loop BB2_27 Depth=2
                                        ; =>    This Inner Loop Header: Depth=3
	global_load_dwordx2 v[36:37], v[32:33], off
	v_cmp_eq_u32_e32 vcc, s25, v2
	v_add_u32_e32 v35, 1, v34
	v_add_u32_e32 v34, 0x100, v34
	v_cmp_ge_u32_e64 s[0:1], v34, v51
	v_lshl_add_u64 v[32:33], v[32:33], 0, s[86:87]
	s_waitcnt vmcnt(0)
	v_cmp_lt_f64_e64 s[30:31], v[30:31], |v[36:37]|
	v_and_b32_e32 v38, 0x7fffffff, v37
	s_or_b64 vcc, s[30:31], vcc
	v_cndmask_b32_e32 v31, v31, v38, vcc
	v_cndmask_b32_e32 v30, v30, v36, vcc
	s_or_b64 s[26:27], s[0:1], s[26:27]
	v_cndmask_b32_e32 v2, v2, v35, vcc
	s_andn2_b64 exec, exec, s[26:27]
	s_cbranch_execnz .LBB2_72
; %bb.73:                               ;   in Loop: Header=BB2_27 Depth=2
	s_or_b64 exec, exec, s[26:27]
.LBB2_74:                               ;   Parent Loop BB2_17 Depth=1
                                        ;     Parent Loop BB2_27 Depth=2
                                        ; =>    This Loop Header: Depth=3
                                        ;         Child Loop BB2_109 Depth 4
                                        ;         Child Loop BB2_112 Depth 4
	;; [unrolled: 1-line block ×4, first 2 shown]
                                        ;           Child Loop BB2_128 Depth 5
                                        ;         Child Loop BB2_142 Depth 4
                                        ;           Child Loop BB2_143 Depth 5
                                        ;           Child Loop BB2_145 Depth 5
                                        ;         Child Loop BB2_150 Depth 4
	s_or_b64 exec, exec, s[18:19]
	ds_write_b64 v1, v[30:31]
	ds_write_b32 v47, v2 offset:4096
	s_waitcnt lgkmcnt(0)
	s_barrier
	s_and_saveexec_b64 s[18:19], s[2:3]
	s_cbranch_execz .LBB2_80
; %bb.75:                               ;   in Loop: Header=BB2_74 Depth=3
	ds_read_b64 v[32:33], v1 offset:1024
	ds_read_b32 v34, v47 offset:4608
	s_waitcnt lgkmcnt(1)
	v_cmp_lt_f64_e64 s[26:27], v[30:31], v[32:33]
	v_cmp_nlt_f64_e32 vcc, v[30:31], v[32:33]
	s_and_saveexec_b64 s[30:31], vcc
	s_cbranch_execz .LBB2_77
; %bb.76:                               ;   in Loop: Header=BB2_74 Depth=3
	v_cmp_eq_f64_e32 vcc, v[30:31], v[32:33]
	s_waitcnt lgkmcnt(0)
	v_cmp_gt_i32_e64 s[0:1], v2, v34
	s_and_b64 s[0:1], vcc, s[0:1]
	s_andn2_b64 s[26:27], s[26:27], exec
	s_and_b64 s[0:1], s[0:1], exec
	s_or_b64 s[26:27], s[26:27], s[0:1]
.LBB2_77:                               ;   in Loop: Header=BB2_74 Depth=3
	s_or_b64 exec, exec, s[30:31]
	s_and_saveexec_b64 s[0:1], s[26:27]
	s_cbranch_execz .LBB2_79
; %bb.78:                               ;   in Loop: Header=BB2_74 Depth=3
	s_waitcnt lgkmcnt(0)
	v_mov_b32_e32 v2, v34
	v_mov_b64_e32 v[30:31], v[32:33]
	ds_write_b64 v1, v[32:33]
	ds_write_b32 v47, v34 offset:4096
.LBB2_79:                               ;   in Loop: Header=BB2_74 Depth=3
	s_or_b64 exec, exec, s[0:1]
.LBB2_80:                               ;   in Loop: Header=BB2_74 Depth=3
	s_or_b64 exec, exec, s[18:19]
	s_waitcnt lgkmcnt(0)
	s_barrier
	s_and_saveexec_b64 s[26:27], s[4:5]
	s_cbranch_execz .LBB2_107
; %bb.81:                               ;   in Loop: Header=BB2_74 Depth=3
	ds_read_b64 v[32:33], v1 offset:512
	ds_read_b32 v34, v47 offset:4352
	s_waitcnt lgkmcnt(1)
	v_cmp_lt_f64_e64 s[18:19], v[30:31], v[32:33]
	v_cmp_nlt_f64_e32 vcc, v[30:31], v[32:33]
	s_and_saveexec_b64 s[30:31], vcc
	s_cbranch_execz .LBB2_83
; %bb.82:                               ;   in Loop: Header=BB2_74 Depth=3
	v_cmp_eq_f64_e32 vcc, v[30:31], v[32:33]
	s_waitcnt lgkmcnt(0)
	v_cmp_gt_i32_e64 s[0:1], v2, v34
	s_and_b64 s[0:1], vcc, s[0:1]
	s_andn2_b64 s[18:19], s[18:19], exec
	s_and_b64 s[0:1], s[0:1], exec
	s_or_b64 s[18:19], s[18:19], s[0:1]
.LBB2_83:                               ;   in Loop: Header=BB2_74 Depth=3
	s_or_b64 exec, exec, s[30:31]
	s_and_saveexec_b64 s[0:1], s[18:19]
	s_cbranch_execz .LBB2_85
; %bb.84:                               ;   in Loop: Header=BB2_74 Depth=3
	v_mov_b64_e32 v[30:31], v[32:33]
	s_waitcnt lgkmcnt(0)
	v_mov_b32_e32 v2, v34
	ds_write_b64 v1, v[32:33]
	ds_write_b32 v47, v34 offset:4096
.LBB2_85:                               ;   in Loop: Header=BB2_74 Depth=3
	s_or_b64 exec, exec, s[0:1]
	ds_read_b64 v[32:33], v1 offset:256
	s_waitcnt lgkmcnt(1)
	ds_read_b32 v34, v47 offset:4224
	s_waitcnt lgkmcnt(1)
	v_cmp_lt_f64_e64 s[18:19], v[30:31], v[32:33]
	v_cmp_nlt_f64_e32 vcc, v[30:31], v[32:33]
	s_and_saveexec_b64 s[30:31], vcc
	s_cbranch_execz .LBB2_87
; %bb.86:                               ;   in Loop: Header=BB2_74 Depth=3
	v_cmp_eq_f64_e32 vcc, v[30:31], v[32:33]
	s_waitcnt lgkmcnt(0)
	v_cmp_gt_i32_e64 s[0:1], v2, v34
	s_and_b64 s[0:1], vcc, s[0:1]
	s_andn2_b64 s[18:19], s[18:19], exec
	s_and_b64 s[0:1], s[0:1], exec
	s_or_b64 s[18:19], s[18:19], s[0:1]
.LBB2_87:                               ;   in Loop: Header=BB2_74 Depth=3
	s_or_b64 exec, exec, s[30:31]
	s_and_saveexec_b64 s[0:1], s[18:19]
	s_cbranch_execz .LBB2_89
; %bb.88:                               ;   in Loop: Header=BB2_74 Depth=3
	v_mov_b64_e32 v[30:31], v[32:33]
	s_waitcnt lgkmcnt(0)
	v_mov_b32_e32 v2, v34
	ds_write_b64 v1, v[32:33]
	ds_write_b32 v47, v34 offset:4096
.LBB2_89:                               ;   in Loop: Header=BB2_74 Depth=3
	s_or_b64 exec, exec, s[0:1]
	ds_read_b64 v[32:33], v1 offset:128
	s_waitcnt lgkmcnt(1)
	;; [unrolled: 28-line block ×4, first 2 shown]
	ds_read_b32 v34, v47 offset:4112
	s_waitcnt lgkmcnt(1)
	v_cmp_lt_f64_e64 s[18:19], v[30:31], v[32:33]
	v_cmp_nlt_f64_e32 vcc, v[30:31], v[32:33]
	s_and_saveexec_b64 s[30:31], vcc
	s_cbranch_execz .LBB2_99
; %bb.98:                               ;   in Loop: Header=BB2_74 Depth=3
	v_cmp_eq_f64_e32 vcc, v[30:31], v[32:33]
	s_waitcnt lgkmcnt(0)
	v_cmp_gt_i32_e64 s[0:1], v2, v34
	s_and_b64 s[0:1], vcc, s[0:1]
	s_andn2_b64 s[18:19], s[18:19], exec
	s_and_b64 s[0:1], s[0:1], exec
	s_or_b64 s[18:19], s[18:19], s[0:1]
.LBB2_99:                               ;   in Loop: Header=BB2_74 Depth=3
	s_or_b64 exec, exec, s[30:31]
	s_and_saveexec_b64 s[0:1], s[18:19]
	s_cbranch_execz .LBB2_101
; %bb.100:                              ;   in Loop: Header=BB2_74 Depth=3
	v_mov_b64_e32 v[30:31], v[32:33]
	s_waitcnt lgkmcnt(0)
	v_mov_b32_e32 v2, v34
	ds_write_b64 v1, v[32:33]
	ds_write_b32 v47, v34 offset:4096
.LBB2_101:                              ;   in Loop: Header=BB2_74 Depth=3
	s_or_b64 exec, exec, s[0:1]
	ds_read_b64 v[32:33], v1 offset:16
	s_waitcnt lgkmcnt(1)
	ds_read_b32 v34, v47 offset:4104
	s_waitcnt lgkmcnt(1)
	v_cmp_lt_f64_e64 s[18:19], v[30:31], v[32:33]
	v_cmp_nlt_f64_e32 vcc, v[30:31], v[32:33]
	s_and_saveexec_b64 s[30:31], vcc
	s_cbranch_execz .LBB2_103
; %bb.102:                              ;   in Loop: Header=BB2_74 Depth=3
	v_cmp_eq_f64_e32 vcc, v[30:31], v[32:33]
	s_waitcnt lgkmcnt(0)
	v_cmp_gt_i32_e64 s[0:1], v2, v34
	s_and_b64 s[0:1], vcc, s[0:1]
	s_andn2_b64 s[18:19], s[18:19], exec
	s_and_b64 s[0:1], s[0:1], exec
	s_or_b64 s[18:19], s[18:19], s[0:1]
.LBB2_103:                              ;   in Loop: Header=BB2_74 Depth=3
	s_or_b64 exec, exec, s[30:31]
	s_and_saveexec_b64 s[0:1], s[18:19]
	s_cbranch_execz .LBB2_105
; %bb.104:                              ;   in Loop: Header=BB2_74 Depth=3
	v_mov_b64_e32 v[30:31], v[32:33]
	s_waitcnt lgkmcnt(0)
	v_mov_b32_e32 v2, v34
	ds_write_b64 v1, v[32:33]
	ds_write_b32 v47, v34 offset:4096
.LBB2_105:                              ;   in Loop: Header=BB2_74 Depth=3
	s_or_b64 exec, exec, s[0:1]
	ds_read_b64 v[32:33], v1 offset:8
	s_waitcnt lgkmcnt(1)
	ds_read_b32 v34, v47 offset:4100
	s_waitcnt lgkmcnt(1)
	v_cmp_eq_f64_e64 s[0:1], v[30:31], v[32:33]
	s_waitcnt lgkmcnt(0)
	v_cmp_gt_i32_e64 s[18:19], v2, v34
	v_cmp_lt_f64_e32 vcc, v[30:31], v[32:33]
	s_and_b64 s[0:1], s[0:1], s[18:19]
	s_or_b64 s[0:1], vcc, s[0:1]
	s_and_b64 exec, exec, s[0:1]
	s_cbranch_execz .LBB2_107
; %bb.106:                              ;   in Loop: Header=BB2_74 Depth=3
	ds_write_b64 v1, v[32:33]
	ds_write_b32 v47, v34 offset:4096
.LBB2_107:                              ;   in Loop: Header=BB2_74 Depth=3
	s_or_b64 exec, exec, s[26:27]
	s_waitcnt lgkmcnt(0)
	s_barrier
	s_and_saveexec_b64 s[0:1], s[8:9]
	s_cbranch_execz .LBB2_110
; %bb.108:                              ;   in Loop: Header=BB2_74 Depth=3
	global_load_dwordx2 v[30:31], v3, s[78:79]
	ds_read_b64 v[32:33], v50
	v_mov_b32_e32 v2, s49
	v_mov_b32_e32 v34, s48
	s_mov_b64 s[18:19], 0
	s_waitcnt vmcnt(0)
	v_and_b32_e32 v35, 0x7fffffff, v31
	v_cmp_lt_f64_e64 vcc, s[48:49], |v[30:31]|
	s_nop 1
	v_cndmask_b32_e32 v31, v2, v35, vcc
	v_cndmask_b32_e32 v30, v34, v30, vcc
	v_mul_f64 v[34:35], v[22:23], v[30:31]
	s_waitcnt lgkmcnt(0)
	v_div_scale_f64 v[36:37], s[26:27], v[32:33], v[32:33], v[34:35]
	v_rcp_f64_e32 v[38:39], v[36:37]
	v_div_scale_f64 v[40:41], vcc, v[34:35], v[32:33], v[34:35]
	v_mov_b64_e32 v[30:31], v[8:9]
	v_fma_f64 v[42:43], -v[36:37], v[38:39], 1.0
	v_fmac_f64_e32 v[38:39], v[38:39], v[42:43]
	v_fma_f64 v[42:43], -v[36:37], v[38:39], 1.0
	v_fmac_f64_e32 v[38:39], v[38:39], v[42:43]
	v_mul_f64 v[42:43], v[40:41], v[38:39]
	v_fma_f64 v[36:37], -v[36:37], v[42:43], v[40:41]
	v_div_fmas_f64 v[36:37], v[36:37], v[38:39], v[42:43]
	v_div_fixup_f64 v[32:33], v[36:37], v[32:33], v[34:35]
	v_mov_b32_e32 v2, v0
.LBB2_109:                              ;   Parent Loop BB2_17 Depth=1
                                        ;     Parent Loop BB2_27 Depth=2
                                        ;       Parent Loop BB2_74 Depth=3
                                        ; =>      This Inner Loop Header: Depth=4
	global_load_dwordx2 v[34:35], v[30:31], off
	v_add_u32_e32 v2, 0x100, v2
	v_cmp_lt_i32_e32 vcc, s96, v2
	s_or_b64 s[18:19], vcc, s[18:19]
	s_waitcnt vmcnt(0)
	v_mul_f64 v[34:35], v[32:33], v[34:35]
	global_store_dwordx2 v[30:31], v[34:35], off
	v_lshl_add_u64 v[30:31], v[30:31], 0, s[86:87]
	s_andn2_b64 exec, exec, s[18:19]
	s_cbranch_execnz .LBB2_109
.LBB2_110:                              ;   in Loop: Header=BB2_74 Depth=3
	s_or_b64 exec, exec, s[0:1]
	s_barrier
	s_and_saveexec_b64 s[18:19], s[16:17]
	s_cbranch_execz .LBB2_138
; %bb.111:                              ;   in Loop: Header=BB2_74 Depth=3
	global_load_dwordx4 v[30:33], v3, s[36:37]
	global_load_dwordx2 v[34:35], v3, s[46:47] offset:8
	s_mov_b64 s[0:1], s[62:63]
	s_mov_b64 s[26:27], s[74:75]
	s_andn2_b64 vcc, exec, s[14:15]
	s_mov_b32 s30, s91
	s_waitcnt vmcnt(1)
	v_max_f64 v[32:33], |v[32:33]|, |v[32:33]|
	s_waitcnt vmcnt(0)
	v_max_f64 v[34:35], |v[34:35]|, |v[34:35]|
	v_max_f64 v[30:31], |v[30:31]|, |v[30:31]|
	v_max_f64 v[32:33], v[32:33], v[34:35]
	v_max_f64 v[30:31], v[30:31], v[32:33]
	s_cbranch_vccnz .LBB2_113
.LBB2_112:                              ;   Parent Loop BB2_17 Depth=1
                                        ;     Parent Loop BB2_27 Depth=2
                                        ;       Parent Loop BB2_74 Depth=3
                                        ; =>      This Inner Loop Header: Depth=4
	s_add_u32 s34, s26, s40
	s_addc_u32 s35, s27, s64
	global_load_dwordx2 v[32:33], v3, s[26:27]
	global_load_dwordx2 v[34:35], v3, s[0:1]
	;; [unrolled: 1-line block ×3, first 2 shown]
	s_add_i32 s30, s30, -1
	s_add_u32 s26, s26, 8
	v_max_f64 v[30:31], v[30:31], v[30:31]
	s_addc_u32 s27, s27, 0
	s_add_u32 s0, s0, 8
	s_addc_u32 s1, s1, 0
	s_cmp_lg_u32 s30, 0
	s_waitcnt vmcnt(2)
	v_max_f64 v[32:33], |v[32:33]|, |v[32:33]|
	s_waitcnt vmcnt(1)
	v_max_f64 v[34:35], |v[34:35]|, |v[34:35]|
	v_max_f64 v[30:31], v[30:31], v[32:33]
	s_waitcnt vmcnt(0)
	v_max_f64 v[32:33], |v[36:37]|, |v[36:37]|
	v_max_f64 v[32:33], v[32:33], v[34:35]
	v_max_f64 v[30:31], v[30:31], v[32:33]
	s_cbranch_scc1 .LBB2_112
.LBB2_113:                              ;   in Loop: Header=BB2_74 Depth=3
	s_mov_b32 s38, s96
	s_mov_b64 s[0:1], s[66:67]
	s_mov_b64 s[26:27], s[60:61]
	;; [unrolled: 1-line block ×3, first 2 shown]
	s_branch .LBB2_115
.LBB2_114:                              ;   in Loop: Header=BB2_115 Depth=4
	s_add_u32 s34, s34, 8
	s_addc_u32 s35, s35, 0
	s_add_u32 s26, s26, 8
	s_addc_u32 s27, s27, 0
	;; [unrolled: 2-line block ×3, first 2 shown]
	s_add_i32 s38, s38, -1
	s_cmp_lg_u32 s38, 0
	s_cbranch_scc0 .LBB2_119
.LBB2_115:                              ;   Parent Loop BB2_17 Depth=1
                                        ;     Parent Loop BB2_27 Depth=2
                                        ;       Parent Loop BB2_74 Depth=3
                                        ; =>      This Inner Loop Header: Depth=4
	global_load_dword v2, v3, s[0:1]
	s_waitcnt vmcnt(0)
	v_cmp_ne_u32_e32 vcc, 0, v2
	s_cbranch_vccz .LBB2_117
; %bb.116:                              ;   in Loop: Header=BB2_115 Depth=4
	global_load_dwordx4 v[32:35], v3, s[34:35] offset:-8
	s_waitcnt vmcnt(0)
	global_store_dwordx2 v3, v[34:35], s[34:35] offset:-8
	global_load_dwordx2 v[36:37], v3, s[26:27]
	s_waitcnt vmcnt(0)
	v_fma_f64 v[32:33], -v[34:35], v[36:37], v[32:33]
	global_store_dwordx2 v3, v[32:33], s[34:35]
	s_cbranch_execnz .LBB2_114
	s_branch .LBB2_118
.LBB2_117:                              ;   in Loop: Header=BB2_115 Depth=4
.LBB2_118:                              ;   in Loop: Header=BB2_115 Depth=4
	global_load_dwordx4 v[32:35], v3, s[34:35] offset:-8
	global_load_dwordx2 v[36:37], v3, s[26:27]
	s_waitcnt vmcnt(0)
	v_fma_f64 v[32:33], -v[36:37], v[32:33], v[34:35]
	global_store_dwordx2 v3, v[32:33], s[34:35]
	s_branch .LBB2_114
.LBB2_119:                              ;   in Loop: Header=BB2_74 Depth=3
	v_mul_f64 v[30:31], s[48:49], v[30:31]
	v_cmp_eq_f64_e32 vcc, 0, v[30:31]
	s_and_b64 s[0:1], vcc, exec
	v_readfirstlane_b32 s26, v31
	v_readfirstlane_b32 s0, v30
	s_cselect_b32 s55, s49, s26
	s_cselect_b32 s58, s48, s0
	s_and_b32 s59, s55, 0x7fffffff
	s_mov_b32 s70, s58
	s_mov_b32 s38, s96
	s_branch .LBB2_122
.LBB2_120:                              ;   in Loop: Header=BB2_122 Depth=4
	v_mov_b64_e32 v[32:33], v[40:41]
.LBB2_121:                              ;   in Loop: Header=BB2_122 Depth=4
	v_div_scale_f64 v[34:35], s[0:1], v[32:33], v[32:33], v[30:31]
	v_rcp_f64_e32 v[36:37], v[34:35]
	v_div_scale_f64 v[38:39], vcc, v[30:31], v[32:33], v[30:31]
	s_add_i32 s0, s38, -1
	v_fma_f64 v[40:41], -v[34:35], v[36:37], 1.0
	v_fmac_f64_e32 v[36:37], v[36:37], v[40:41]
	v_fma_f64 v[40:41], -v[34:35], v[36:37], 1.0
	v_fmac_f64_e32 v[36:37], v[36:37], v[40:41]
	v_mul_f64 v[40:41], v[38:39], v[36:37]
	v_fma_f64 v[34:35], -v[34:35], v[40:41], v[38:39]
	v_div_fmas_f64 v[34:35], v[34:35], v[36:37], v[40:41]
	v_div_fixup_f64 v[30:31], v[34:35], v[32:33], v[30:31]
	s_cmp_gt_i32 s38, 0
	s_mov_b32 s38, s0
	global_store_dwordx2 v3, v[30:31], s[26:27]
	s_cbranch_scc0 .LBB2_138
.LBB2_122:                              ;   Parent Loop BB2_17 Depth=1
                                        ;     Parent Loop BB2_27 Depth=2
                                        ;       Parent Loop BB2_74 Depth=3
                                        ; =>      This Loop Header: Depth=4
                                        ;           Child Loop BB2_128 Depth 5
	s_lshl_b64 s[0:1], s[38:39], 3
	s_add_u32 s26, s20, s0
	s_addc_u32 s27, s21, s1
	global_load_dwordx2 v[30:31], v3, s[26:27]
	s_cmp_ge_i32 s38, s96
	s_cbranch_scc1 .LBB2_124
; %bb.123:                              ;   in Loop: Header=BB2_122 Depth=4
	s_add_u32 s30, s46, s0
	s_addc_u32 s31, s47, s1
	global_load_dwordx2 v[32:33], v3, s[30:31] offset:8
	global_load_dwordx2 v[34:35], v3, s[26:27] offset:8
	s_waitcnt vmcnt(0)
	v_fma_f64 v[30:31], -v[32:33], v[34:35], v[30:31]
.LBB2_124:                              ;   in Loop: Header=BB2_122 Depth=4
	s_cmp_ge_i32 s38, s91
	s_cbranch_scc1 .LBB2_126
; %bb.125:                              ;   in Loop: Header=BB2_122 Depth=4
	s_add_u32 s30, s62, s0
	s_addc_u32 s31, s63, s1
	global_load_dwordx2 v[32:33], v3, s[30:31]
	global_load_dwordx2 v[34:35], v3, s[26:27] offset:16
	s_waitcnt vmcnt(0)
	v_fma_f64 v[30:31], -v[32:33], v[34:35], v[30:31]
.LBB2_126:                              ;   in Loop: Header=BB2_122 Depth=4
	s_add_u32 s0, s36, s0
	s_addc_u32 s1, s37, s1
	global_load_dwordx2 v[32:33], v3, s[0:1]
	s_waitcnt vmcnt(0)
	v_cmp_nlt_f64_e64 s[0:1], |v[32:33]|, 1.0
	s_and_b64 vcc, exec, s[0:1]
	s_cbranch_vccnz .LBB2_121
; %bb.127:                              ;   in Loop: Header=BB2_122 Depth=4
	v_cmp_nle_f64_e32 vcc, 0, v[32:33]
	s_xor_b32 s30, s59, 0x80000000
	s_and_b32 s31, s55, 0x7fffffff
	s_and_b64 s[0:1], vcc, exec
	s_cselect_b32 s1, s30, s31
	s_cselect_b32 s0, s70, s58
	v_and_b32_e32 v39, 0x7fffffff, v33
	v_mov_b32_e32 v38, v32
	v_mul_f64 v[34:35], s[50:51], |v[30:31]|
	v_mov_b64_e32 v[36:37], s[0:1]
.LBB2_128:                              ;   Parent Loop BB2_17 Depth=1
                                        ;     Parent Loop BB2_27 Depth=2
                                        ;       Parent Loop BB2_74 Depth=3
                                        ;         Parent Loop BB2_122 Depth=4
                                        ; =>        This Inner Loop Header: Depth=5
	v_cmp_ngt_f64_e32 vcc, s[50:51], v[38:39]
	s_mov_b64 s[0:1], -1
	s_mov_b64 s[30:31], 0
	s_mov_b64 s[34:35], -1
	s_cbranch_vccnz .LBB2_132
; %bb.129:                              ;   in Loop: Header=BB2_128 Depth=5
	s_andn2_b64 vcc, exec, s[34:35]
	s_cbranch_vccz .LBB2_133
.LBB2_130:                              ;   in Loop: Header=BB2_128 Depth=5
	s_andn2_b64 vcc, exec, s[30:31]
	s_cbranch_vccnz .LBB2_134
.LBB2_131:                              ;   in Loop: Header=BB2_128 Depth=5
	v_add_f64 v[40:41], v[32:33], v[36:37]
	v_add_f64 v[36:37], v[36:37], v[36:37]
	v_and_b32_e32 v39, 0x7fffffff, v41
	v_mov_b32_e32 v38, v40
	v_cmp_nlt_f64_e64 s[30:31], |v[40:41]|, 1.0
	s_mov_b64 s[0:1], -1
	s_andn2_b64 vcc, exec, s[30:31]
	s_cbranch_vccnz .LBB2_135
	s_branch .LBB2_136
.LBB2_132:                              ;   in Loop: Header=BB2_128 Depth=5
	v_mul_f64 v[40:41], v[6:7], v[38:39]
	v_cmp_gt_f64_e64 s[30:31], |v[30:31]|, v[40:41]
	s_cbranch_execnz .LBB2_130
.LBB2_133:                              ;   in Loop: Header=BB2_128 Depth=5
	v_cmp_eq_f64_e32 vcc, 0, v[32:33]
	v_cmp_gt_f64_e64 s[0:1], v[34:35], v[38:39]
	s_or_b64 s[30:31], vcc, s[0:1]
	s_mov_b64 s[0:1], 0
	s_andn2_b64 vcc, exec, s[30:31]
	s_cbranch_vccz .LBB2_131
.LBB2_134:                              ;   in Loop: Header=BB2_122 Depth=4
                                        ; implicit-def: $vgpr36_vgpr37
                                        ; implicit-def: $vgpr38_vgpr39
	v_mov_b64_e32 v[40:41], v[32:33]
	s_branch .LBB2_136
.LBB2_135:                              ;   in Loop: Header=BB2_128 Depth=5
	v_mov_b64_e32 v[32:33], v[40:41]
	s_branch .LBB2_128
.LBB2_136:                              ;   in Loop: Header=BB2_122 Depth=4
	s_andn2_b64 vcc, exec, s[0:1]
	s_cbranch_vccz .LBB2_120
; %bb.137:                              ;   in Loop: Header=BB2_122 Depth=4
	v_mul_f64 v[30:31], v[6:7], v[30:31]
	v_mul_f64 v[40:41], v[6:7], v[32:33]
	s_branch .LBB2_120
.LBB2_138:                              ;   in Loop: Header=BB2_74 Depth=3
	s_or_b64 exec, exec, s[18:19]
	s_andn2_b64 vcc, exec, s[84:85]
	s_barrier
	s_cbranch_vccnz .LBB2_148
; %bb.139:                              ;   in Loop: Header=BB2_74 Depth=3
	s_and_b64 s[0:1], s[68:69], exec
	s_cselect_b32 s30, s80, s89
	s_cmp_eq_u32 s30, s80
	s_mov_b32 s89, s80
	s_cbranch_scc1 .LBB2_148
; %bb.140:                              ;   in Loop: Header=BB2_74 Depth=3
	s_cmp_lt_i32 s30, s80
	s_cselect_b64 s[0:1], -1, 0
	s_and_b64 s[18:19], s[16:17], s[0:1]
	s_and_saveexec_b64 s[0:1], s[18:19]
	s_cbranch_execz .LBB2_147
; %bb.141:                              ;   in Loop: Header=BB2_74 Depth=3
	s_mul_i32 s18, s41, s30
	s_add_i32 s31, s92, s18
	s_mov_b32 s34, s30
.LBB2_142:                              ;   Parent Loop BB2_17 Depth=1
                                        ;     Parent Loop BB2_27 Depth=2
                                        ;       Parent Loop BB2_74 Depth=3
                                        ; =>      This Loop Header: Depth=4
                                        ;           Child Loop BB2_143 Depth 5
                                        ;           Child Loop BB2_145 Depth 5
	v_mov_b64_e32 v[30:31], 0
	s_mov_b64 s[18:19], s[20:21]
	s_mov_b32 s26, s31
	s_mov_b32 s35, s93
.LBB2_143:                              ;   Parent Loop BB2_17 Depth=1
                                        ;     Parent Loop BB2_27 Depth=2
                                        ;       Parent Loop BB2_74 Depth=3
                                        ;         Parent Loop BB2_142 Depth=4
                                        ; =>        This Inner Loop Header: Depth=5
	s_ashr_i32 s27, s26, 31
	s_lshl_b64 s[58:59], s[26:27], 3
	s_add_u32 s58, s28, s58
	s_addc_u32 s59, s29, s59
	global_load_dwordx2 v[32:33], v3, s[18:19]
	global_load_dwordx2 v[34:35], v3, s[58:59]
	s_add_i32 s35, s35, -1
	s_add_i32 s26, s26, 1
	s_add_u32 s18, s18, 8
	s_addc_u32 s19, s19, 0
	s_cmp_lg_u32 s35, 0
	s_waitcnt vmcnt(0)
	v_fmac_f64_e32 v[30:31], v[32:33], v[34:35]
	s_cbranch_scc1 .LBB2_143
; %bb.144:                              ;   in Loop: Header=BB2_142 Depth=4
	s_mov_b32 s26, 0
	s_mov_b64 s[18:19], s[20:21]
.LBB2_145:                              ;   Parent Loop BB2_17 Depth=1
                                        ;     Parent Loop BB2_27 Depth=2
                                        ;       Parent Loop BB2_74 Depth=3
                                        ;         Parent Loop BB2_142 Depth=4
                                        ; =>        This Inner Loop Header: Depth=5
	s_add_i32 s58, s31, s26
	s_ashr_i32 s59, s58, 31
	s_lshl_b64 s[58:59], s[58:59], 3
	s_add_u32 s58, s28, s58
	s_addc_u32 s59, s29, s59
	global_load_dwordx2 v[32:33], v3, s[18:19]
	global_load_dwordx2 v[34:35], v3, s[58:59]
	s_add_i32 s26, s26, 1
	s_waitcnt vmcnt(0)
	v_fma_f64 v[32:33], -v[30:31], v[34:35], v[32:33]
	global_store_dwordx2 v3, v[32:33], s[18:19]
	s_add_u32 s18, s18, 8
	s_addc_u32 s19, s19, 0
	s_cmp_lg_u32 s93, s26
	s_cbranch_scc1 .LBB2_145
; %bb.146:                              ;   in Loop: Header=BB2_142 Depth=4
	s_add_i32 s34, s34, 1
	s_add_i32 s31, s31, s41
	s_cmp_lt_i32 s34, s80
	s_cbranch_scc1 .LBB2_142
.LBB2_147:                              ;   in Loop: Header=BB2_74 Depth=3
	s_or_b64 exec, exec, s[0:1]
	s_mov_b32 s89, s30
	s_barrier
.LBB2_148:                              ;   in Loop: Header=BB2_74 Depth=3
	v_mov_b64_e32 v[30:31], 0
	v_bfrev_b32_e32 v2, -2
	s_and_saveexec_b64 s[18:19], s[12:13]
	s_cbranch_execz .LBB2_152
; %bb.149:                              ;   in Loop: Header=BB2_74 Depth=3
	v_mov_b64_e32 v[30:31], 0
	v_bfrev_b32_e32 v2, -2
	s_mov_b64 s[26:27], 0
	v_mov_b64_e32 v[32:33], v[8:9]
	v_mov_b32_e32 v34, v0
.LBB2_150:                              ;   Parent Loop BB2_17 Depth=1
                                        ;     Parent Loop BB2_27 Depth=2
                                        ;       Parent Loop BB2_74 Depth=3
                                        ; =>      This Inner Loop Header: Depth=4
	global_load_dwordx2 v[36:37], v[32:33], off
	v_cmp_eq_u32_e32 vcc, s25, v2
	v_add_u32_e32 v35, 1, v34
	v_add_u32_e32 v34, 0x100, v34
	v_cmp_ge_u32_e64 s[0:1], v34, v51
	v_lshl_add_u64 v[32:33], v[32:33], 0, s[86:87]
	s_waitcnt vmcnt(0)
	v_cmp_lt_f64_e64 s[30:31], v[30:31], |v[36:37]|
	v_and_b32_e32 v38, 0x7fffffff, v37
	s_or_b64 vcc, s[30:31], vcc
	v_cndmask_b32_e32 v31, v31, v38, vcc
	v_cndmask_b32_e32 v30, v30, v36, vcc
	s_or_b64 s[26:27], s[0:1], s[26:27]
	v_cndmask_b32_e32 v2, v2, v35, vcc
	s_andn2_b64 exec, exec, s[26:27]
	s_cbranch_execnz .LBB2_150
; %bb.151:                              ;   in Loop: Header=BB2_74 Depth=3
	s_or_b64 exec, exec, s[26:27]
.LBB2_152:                              ;   in Loop: Header=BB2_74 Depth=3
	s_or_b64 exec, exec, s[18:19]
	ds_write_b64 v1, v[30:31]
	ds_write_b32 v47, v2 offset:4096
	s_waitcnt lgkmcnt(0)
	s_barrier
	s_and_saveexec_b64 s[18:19], s[2:3]
	s_cbranch_execz .LBB2_158
; %bb.153:                              ;   in Loop: Header=BB2_74 Depth=3
	ds_read_b64 v[32:33], v1 offset:1024
	ds_read_b32 v34, v47 offset:4608
	s_waitcnt lgkmcnt(1)
	v_cmp_lt_f64_e64 s[26:27], v[30:31], v[32:33]
	v_cmp_nlt_f64_e32 vcc, v[30:31], v[32:33]
	s_and_saveexec_b64 s[30:31], vcc
	s_cbranch_execz .LBB2_155
; %bb.154:                              ;   in Loop: Header=BB2_74 Depth=3
	v_cmp_eq_f64_e32 vcc, v[30:31], v[32:33]
	s_waitcnt lgkmcnt(0)
	v_cmp_gt_i32_e64 s[0:1], v2, v34
	s_and_b64 s[0:1], vcc, s[0:1]
	s_andn2_b64 s[26:27], s[26:27], exec
	s_and_b64 s[0:1], s[0:1], exec
	s_or_b64 s[26:27], s[26:27], s[0:1]
.LBB2_155:                              ;   in Loop: Header=BB2_74 Depth=3
	s_or_b64 exec, exec, s[30:31]
	s_and_saveexec_b64 s[0:1], s[26:27]
	s_cbranch_execz .LBB2_157
; %bb.156:                              ;   in Loop: Header=BB2_74 Depth=3
	s_waitcnt lgkmcnt(0)
	v_mov_b32_e32 v2, v34
	v_mov_b64_e32 v[30:31], v[32:33]
	ds_write_b64 v1, v[32:33]
	ds_write_b32 v47, v34 offset:4096
.LBB2_157:                              ;   in Loop: Header=BB2_74 Depth=3
	s_or_b64 exec, exec, s[0:1]
.LBB2_158:                              ;   in Loop: Header=BB2_74 Depth=3
	s_or_b64 exec, exec, s[18:19]
	s_waitcnt lgkmcnt(0)
	s_barrier
	s_and_saveexec_b64 s[26:27], s[4:5]
	s_cbranch_execz .LBB2_185
; %bb.159:                              ;   in Loop: Header=BB2_74 Depth=3
	ds_read_b64 v[32:33], v1 offset:512
	ds_read_b32 v34, v47 offset:4352
	s_waitcnt lgkmcnt(1)
	v_cmp_lt_f64_e64 s[18:19], v[30:31], v[32:33]
	v_cmp_nlt_f64_e32 vcc, v[30:31], v[32:33]
	s_and_saveexec_b64 s[30:31], vcc
	s_cbranch_execz .LBB2_161
; %bb.160:                              ;   in Loop: Header=BB2_74 Depth=3
	v_cmp_eq_f64_e32 vcc, v[30:31], v[32:33]
	s_waitcnt lgkmcnt(0)
	v_cmp_gt_i32_e64 s[0:1], v2, v34
	s_and_b64 s[0:1], vcc, s[0:1]
	s_andn2_b64 s[18:19], s[18:19], exec
	s_and_b64 s[0:1], s[0:1], exec
	s_or_b64 s[18:19], s[18:19], s[0:1]
.LBB2_161:                              ;   in Loop: Header=BB2_74 Depth=3
	s_or_b64 exec, exec, s[30:31]
	s_and_saveexec_b64 s[0:1], s[18:19]
	s_cbranch_execz .LBB2_163
; %bb.162:                              ;   in Loop: Header=BB2_74 Depth=3
	v_mov_b64_e32 v[30:31], v[32:33]
	s_waitcnt lgkmcnt(0)
	v_mov_b32_e32 v2, v34
	ds_write_b64 v1, v[32:33]
	ds_write_b32 v47, v34 offset:4096
.LBB2_163:                              ;   in Loop: Header=BB2_74 Depth=3
	s_or_b64 exec, exec, s[0:1]
	ds_read_b64 v[32:33], v1 offset:256
	s_waitcnt lgkmcnt(1)
	ds_read_b32 v34, v47 offset:4224
	s_waitcnt lgkmcnt(1)
	v_cmp_lt_f64_e64 s[18:19], v[30:31], v[32:33]
	v_cmp_nlt_f64_e32 vcc, v[30:31], v[32:33]
	s_and_saveexec_b64 s[30:31], vcc
	s_cbranch_execz .LBB2_165
; %bb.164:                              ;   in Loop: Header=BB2_74 Depth=3
	v_cmp_eq_f64_e32 vcc, v[30:31], v[32:33]
	s_waitcnt lgkmcnt(0)
	v_cmp_gt_i32_e64 s[0:1], v2, v34
	s_and_b64 s[0:1], vcc, s[0:1]
	s_andn2_b64 s[18:19], s[18:19], exec
	s_and_b64 s[0:1], s[0:1], exec
	s_or_b64 s[18:19], s[18:19], s[0:1]
.LBB2_165:                              ;   in Loop: Header=BB2_74 Depth=3
	s_or_b64 exec, exec, s[30:31]
	s_and_saveexec_b64 s[0:1], s[18:19]
	s_cbranch_execz .LBB2_167
; %bb.166:                              ;   in Loop: Header=BB2_74 Depth=3
	v_mov_b64_e32 v[30:31], v[32:33]
	s_waitcnt lgkmcnt(0)
	v_mov_b32_e32 v2, v34
	ds_write_b64 v1, v[32:33]
	ds_write_b32 v47, v34 offset:4096
.LBB2_167:                              ;   in Loop: Header=BB2_74 Depth=3
	s_or_b64 exec, exec, s[0:1]
	ds_read_b64 v[32:33], v1 offset:128
	s_waitcnt lgkmcnt(1)
	;; [unrolled: 28-line block ×6, first 2 shown]
	ds_read_b32 v34, v47 offset:4100
	s_waitcnt lgkmcnt(1)
	v_cmp_eq_f64_e64 s[0:1], v[30:31], v[32:33]
	s_waitcnt lgkmcnt(0)
	v_cmp_gt_i32_e64 s[18:19], v2, v34
	v_cmp_lt_f64_e32 vcc, v[30:31], v[32:33]
	s_and_b64 s[0:1], s[0:1], s[18:19]
	s_or_b64 s[0:1], vcc, s[0:1]
	s_and_b64 exec, exec, s[0:1]
	s_cbranch_execz .LBB2_185
; %bb.184:                              ;   in Loop: Header=BB2_74 Depth=3
	ds_write_b64 v1, v[32:33]
	ds_write_b32 v47, v34 offset:4096
.LBB2_185:                              ;   in Loop: Header=BB2_74 Depth=3
	s_or_b64 exec, exec, s[26:27]
	s_waitcnt lgkmcnt(0)
	s_barrier
	ds_read_b64 v[30:31], v50
	s_add_i32 s18, s54, 1
	s_waitcnt lgkmcnt(0)
	v_cmp_ge_f64_e32 vcc, v[30:31], v[20:21]
	s_nop 1
	v_cndmask_b32_e64 v2, 0, 1, vcc
	s_nop 0
	v_readfirstlane_b32 s0, v2
	s_add_i32 s11, s11, s0
	s_cmp_lt_u32 s54, 4
	s_cselect_b64 s[26:27], -1, 0
	s_cmp_lt_u32 s11, 2
	s_cselect_b64 s[0:1], -1, 0
	s_and_b64 s[26:27], s[26:27], s[0:1]
	s_and_b64 vcc, exec, s[26:27]
	s_cbranch_vccz .LBB2_187
; %bb.186:                              ;   in Loop: Header=BB2_74 Depth=3
	s_mov_b32 s54, s18
	v_mov_b64_e32 v[30:31], 0
	v_bfrev_b32_e32 v2, -2
	s_and_saveexec_b64 s[18:19], s[12:13]
	s_cbranch_execnz .LBB2_71
	s_branch .LBB2_74
.LBB2_187:                              ;   in Loop: Header=BB2_27 Depth=2
	v_readlane_b32 s6, v64, 5
	v_readlane_b32 s7, v64, 6
	s_and_b64 s[18:19], s[6:7], s[0:1]
	s_and_saveexec_b64 s[0:1], s[18:19]
	s_cbranch_execz .LBB2_189
; %bb.188:                              ;   in Loop: Header=BB2_27 Depth=2
	ds_read_b32 v30, v3
	s_add_i32 s11, s80, 1
	v_mov_b32_e32 v32, s11
	s_waitcnt lgkmcnt(0)
	v_ashrrev_i32_e32 v31, 31, v30
	v_add_u32_e32 v2, 1, v30
	v_lshlrev_b64 v[30:31], 2, v[30:31]
	v_lshl_add_u64 v[30:31], s[72:73], 0, v[30:31]
	global_store_dword v[30:31], v32, off
	ds_write_b32 v3, v2
.LBB2_189:                              ;   in Loop: Header=BB2_27 Depth=2
	s_or_b64 exec, exec, s[0:1]
	v_mov_b64_e32 v[30:31], 0
	v_bfrev_b32_e32 v2, -2
	s_and_saveexec_b64 s[18:19], s[12:13]
	v_readlane_b32 s58, v64, 26
	v_readlane_b32 s59, v64, 27
	s_cbranch_execz .LBB2_193
; %bb.190:                              ;   in Loop: Header=BB2_27 Depth=2
	v_mov_b64_e32 v[30:31], 0
	v_bfrev_b32_e32 v2, -2
	s_mov_b64 s[26:27], 0
	v_mov_b64_e32 v[32:33], v[8:9]
	v_mov_b32_e32 v34, v0
.LBB2_191:                              ;   Parent Loop BB2_17 Depth=1
                                        ;     Parent Loop BB2_27 Depth=2
                                        ; =>    This Inner Loop Header: Depth=3
	global_load_dwordx2 v[36:37], v[32:33], off
	v_cmp_eq_u32_e32 vcc, s25, v2
	v_add_u32_e32 v35, 1, v34
	v_add_u32_e32 v34, 0x100, v34
	v_cmp_ge_u32_e64 s[0:1], v34, v51
	v_lshl_add_u64 v[32:33], v[32:33], 0, s[86:87]
	s_waitcnt vmcnt(0)
	v_cmp_lt_f64_e64 s[30:31], v[30:31], |v[36:37]|
	v_and_b32_e32 v38, 0x7fffffff, v37
	s_or_b64 vcc, s[30:31], vcc
	v_cndmask_b32_e32 v31, v31, v38, vcc
	v_cndmask_b32_e32 v30, v30, v36, vcc
	s_or_b64 s[26:27], s[0:1], s[26:27]
	v_cndmask_b32_e32 v2, v2, v35, vcc
	s_andn2_b64 exec, exec, s[26:27]
	s_cbranch_execnz .LBB2_191
; %bb.192:                              ;   in Loop: Header=BB2_27 Depth=2
	s_or_b64 exec, exec, s[26:27]
.LBB2_193:                              ;   in Loop: Header=BB2_27 Depth=2
	s_or_b64 exec, exec, s[18:19]
	ds_write_b64 v1, v[30:31]
	ds_write_b32 v47, v2 offset:4096
	s_waitcnt lgkmcnt(0)
	s_barrier
	s_and_saveexec_b64 s[18:19], s[2:3]
	s_cbranch_execz .LBB2_199
; %bb.194:                              ;   in Loop: Header=BB2_27 Depth=2
	ds_read_b64 v[32:33], v1 offset:1024
	ds_read_b32 v34, v47 offset:4608
	s_waitcnt lgkmcnt(1)
	v_cmp_lt_f64_e64 s[26:27], v[30:31], v[32:33]
	v_cmp_nlt_f64_e32 vcc, v[30:31], v[32:33]
	s_and_saveexec_b64 s[30:31], vcc
	s_cbranch_execz .LBB2_196
; %bb.195:                              ;   in Loop: Header=BB2_27 Depth=2
	v_cmp_eq_f64_e32 vcc, v[30:31], v[32:33]
	s_waitcnt lgkmcnt(0)
	v_cmp_gt_i32_e64 s[0:1], v2, v34
	s_and_b64 s[0:1], vcc, s[0:1]
	s_andn2_b64 s[26:27], s[26:27], exec
	s_and_b64 s[0:1], s[0:1], exec
	s_or_b64 s[26:27], s[26:27], s[0:1]
.LBB2_196:                              ;   in Loop: Header=BB2_27 Depth=2
	s_or_b64 exec, exec, s[30:31]
	s_and_saveexec_b64 s[0:1], s[26:27]
	s_cbranch_execz .LBB2_198
; %bb.197:                              ;   in Loop: Header=BB2_27 Depth=2
	s_waitcnt lgkmcnt(0)
	v_mov_b32_e32 v2, v34
	v_mov_b64_e32 v[30:31], v[32:33]
	ds_write_b64 v1, v[32:33]
	ds_write_b32 v47, v34 offset:4096
.LBB2_198:                              ;   in Loop: Header=BB2_27 Depth=2
	s_or_b64 exec, exec, s[0:1]
.LBB2_199:                              ;   in Loop: Header=BB2_27 Depth=2
	s_or_b64 exec, exec, s[18:19]
	s_waitcnt lgkmcnt(0)
	s_barrier
	s_and_saveexec_b64 s[26:27], s[4:5]
	s_cbranch_execz .LBB2_226
; %bb.200:                              ;   in Loop: Header=BB2_27 Depth=2
	ds_read_b64 v[32:33], v1 offset:512
	ds_read_b32 v34, v47 offset:4352
	s_waitcnt lgkmcnt(1)
	v_cmp_lt_f64_e64 s[18:19], v[30:31], v[32:33]
	v_cmp_nlt_f64_e32 vcc, v[30:31], v[32:33]
	s_and_saveexec_b64 s[30:31], vcc
	s_cbranch_execz .LBB2_202
; %bb.201:                              ;   in Loop: Header=BB2_27 Depth=2
	v_cmp_eq_f64_e32 vcc, v[30:31], v[32:33]
	s_waitcnt lgkmcnt(0)
	v_cmp_gt_i32_e64 s[0:1], v2, v34
	s_and_b64 s[0:1], vcc, s[0:1]
	s_andn2_b64 s[18:19], s[18:19], exec
	s_and_b64 s[0:1], s[0:1], exec
	s_or_b64 s[18:19], s[18:19], s[0:1]
.LBB2_202:                              ;   in Loop: Header=BB2_27 Depth=2
	s_or_b64 exec, exec, s[30:31]
	s_and_saveexec_b64 s[0:1], s[18:19]
	s_cbranch_execz .LBB2_204
; %bb.203:                              ;   in Loop: Header=BB2_27 Depth=2
	v_mov_b64_e32 v[30:31], v[32:33]
	s_waitcnt lgkmcnt(0)
	v_mov_b32_e32 v2, v34
	ds_write_b64 v1, v[32:33]
	ds_write_b32 v47, v34 offset:4096
.LBB2_204:                              ;   in Loop: Header=BB2_27 Depth=2
	s_or_b64 exec, exec, s[0:1]
	ds_read_b64 v[32:33], v1 offset:256
	s_waitcnt lgkmcnt(1)
	ds_read_b32 v34, v47 offset:4224
	s_waitcnt lgkmcnt(1)
	v_cmp_lt_f64_e64 s[18:19], v[30:31], v[32:33]
	v_cmp_nlt_f64_e32 vcc, v[30:31], v[32:33]
	s_and_saveexec_b64 s[30:31], vcc
	s_cbranch_execz .LBB2_206
; %bb.205:                              ;   in Loop: Header=BB2_27 Depth=2
	v_cmp_eq_f64_e32 vcc, v[30:31], v[32:33]
	s_waitcnt lgkmcnt(0)
	v_cmp_gt_i32_e64 s[0:1], v2, v34
	s_and_b64 s[0:1], vcc, s[0:1]
	s_andn2_b64 s[18:19], s[18:19], exec
	s_and_b64 s[0:1], s[0:1], exec
	s_or_b64 s[18:19], s[18:19], s[0:1]
.LBB2_206:                              ;   in Loop: Header=BB2_27 Depth=2
	s_or_b64 exec, exec, s[30:31]
	s_and_saveexec_b64 s[0:1], s[18:19]
	s_cbranch_execz .LBB2_208
; %bb.207:                              ;   in Loop: Header=BB2_27 Depth=2
	v_mov_b64_e32 v[30:31], v[32:33]
	s_waitcnt lgkmcnt(0)
	v_mov_b32_e32 v2, v34
	ds_write_b64 v1, v[32:33]
	ds_write_b32 v47, v34 offset:4096
.LBB2_208:                              ;   in Loop: Header=BB2_27 Depth=2
	s_or_b64 exec, exec, s[0:1]
	ds_read_b64 v[32:33], v1 offset:128
	s_waitcnt lgkmcnt(1)
	;; [unrolled: 28-line block ×6, first 2 shown]
	ds_read_b32 v34, v47 offset:4100
	s_waitcnt lgkmcnt(1)
	v_cmp_eq_f64_e64 s[0:1], v[30:31], v[32:33]
	s_waitcnt lgkmcnt(0)
	v_cmp_gt_i32_e64 s[18:19], v2, v34
	v_cmp_lt_f64_e32 vcc, v[30:31], v[32:33]
	s_and_b64 s[0:1], s[0:1], s[18:19]
	s_or_b64 s[0:1], vcc, s[0:1]
	s_and_b64 exec, exec, s[0:1]
	s_cbranch_execz .LBB2_226
; %bb.225:                              ;   in Loop: Header=BB2_27 Depth=2
	ds_write_b64 v1, v[32:33]
	ds_write_b32 v47, v34 offset:4096
.LBB2_226:                              ;   in Loop: Header=BB2_27 Depth=2
	s_or_b64 exec, exec, s[26:27]
	v_mov_b64_e32 v[30:31], 0
	s_and_saveexec_b64 s[0:1], s[12:13]
	s_cbranch_execz .LBB2_230
; %bb.227:                              ;   in Loop: Header=BB2_27 Depth=2
	v_mov_b64_e32 v[30:31], 0
	s_mov_b64 s[18:19], 0
	v_mov_b64_e32 v[32:33], v[8:9]
	v_mov_b32_e32 v2, v0
.LBB2_228:                              ;   Parent Loop BB2_17 Depth=1
                                        ;     Parent Loop BB2_27 Depth=2
                                        ; =>    This Inner Loop Header: Depth=3
	global_load_dwordx2 v[34:35], v[32:33], off
	v_add_u32_e32 v2, 0x100, v2
	v_cmp_ge_u32_e32 vcc, v2, v51
	v_lshl_add_u64 v[32:33], v[32:33], 0, s[86:87]
	s_or_b64 s[18:19], vcc, s[18:19]
	s_waitcnt vmcnt(0)
	v_fmac_f64_e32 v[30:31], v[34:35], v[34:35]
	s_andn2_b64 exec, exec, s[18:19]
	s_cbranch_execnz .LBB2_228
; %bb.229:                              ;   in Loop: Header=BB2_27 Depth=2
	s_or_b64 exec, exec, s[18:19]
.LBB2_230:                              ;   in Loop: Header=BB2_27 Depth=2
	s_or_b64 exec, exec, s[0:1]
	v_add_u32_e32 v2, v47, v46
	ds_write_b64 v2, v[30:31] offset:2048
	s_waitcnt lgkmcnt(0)
	s_barrier
	s_and_saveexec_b64 s[0:1], s[2:3]
	s_cbranch_execz .LBB2_232
; %bb.231:                              ;   in Loop: Header=BB2_27 Depth=2
	ds_read_b64 v[32:33], v2 offset:3072
	s_waitcnt lgkmcnt(0)
	v_add_f64 v[30:31], v[30:31], v[32:33]
.LBB2_232:                              ;   in Loop: Header=BB2_27 Depth=2
	s_or_b64 exec, exec, s[0:1]
	s_barrier
	s_and_saveexec_b64 s[0:1], s[2:3]
; %bb.233:                              ;   in Loop: Header=BB2_27 Depth=2
	ds_write_b64 v2, v[30:31] offset:2048
; %bb.234:                              ;   in Loop: Header=BB2_27 Depth=2
	s_or_b64 exec, exec, s[0:1]
	s_waitcnt lgkmcnt(0)
	s_barrier
	s_and_saveexec_b64 s[0:1], s[4:5]
	s_cbranch_execz .LBB2_236
; %bb.235:                              ;   in Loop: Header=BB2_27 Depth=2
	ds_read2st64_b64 v[30:33], v2 offset0:4 offset1:5
	v_add_u32_e32 v34, 0x800, v2
	s_waitcnt lgkmcnt(0)
	v_add_f64 v[30:31], v[30:31], v[32:33]
	ds_write_b64 v2, v[30:31] offset:2048
	buffer_wbl2 sc1
	s_waitcnt vmcnt(0) lgkmcnt(0)
	buffer_inv sc1
	ds_read2_b64 v[30:33], v34 offset1:32
	s_waitcnt lgkmcnt(0)
	v_add_f64 v[30:31], v[30:31], v[32:33]
	ds_write_b64 v2, v[30:31] offset:2048
	buffer_wbl2 sc1
	s_waitcnt lgkmcnt(0)
	buffer_inv sc1
	ds_read2_b64 v[30:33], v34 offset1:16
	s_waitcnt lgkmcnt(0)
	v_add_f64 v[30:31], v[30:31], v[32:33]
	ds_write_b64 v2, v[30:31] offset:2048
	buffer_wbl2 sc1
	s_waitcnt lgkmcnt(0)
	;; [unrolled: 7-line block ×6, first 2 shown]
	buffer_inv sc1
.LBB2_236:                              ;   in Loop: Header=BB2_27 Depth=2
	s_or_b64 exec, exec, s[0:1]
	s_and_saveexec_b64 s[0:1], s[16:17]
	s_cbranch_execz .LBB2_238
; %bb.237:                              ;   in Loop: Header=BB2_27 Depth=2
	ds_read_b64 v[30:31], v50 offset:2048
	s_mov_b32 s6, 0
	s_brev_b32 s7, 8
	s_waitcnt lgkmcnt(0)
	v_cmp_gt_f64_e32 vcc, s[6:7], v[30:31]
	s_and_b64 s[18:19], vcc, exec
	s_cselect_b32 s11, 0x100, 0
	v_ldexp_f64 v[30:31], v[30:31], s11
	v_rsq_f64_e32 v[32:33], v[30:31]
	s_cselect_b32 s11, 0xffffff80, 0
	v_cmp_class_f64_e32 vcc, v[30:31], v48
	v_mul_f64 v[34:35], v[30:31], v[32:33]
	v_mul_f64 v[32:33], v[32:33], 0.5
	v_fma_f64 v[36:37], -v[32:33], v[34:35], 0.5
	v_fmac_f64_e32 v[34:35], v[34:35], v[36:37]
	v_fmac_f64_e32 v[32:33], v[32:33], v[36:37]
	v_fma_f64 v[36:37], -v[34:35], v[34:35], v[30:31]
	v_fmac_f64_e32 v[34:35], v[36:37], v[32:33]
	v_fma_f64 v[36:37], -v[34:35], v[34:35], v[30:31]
	v_fmac_f64_e32 v[34:35], v[36:37], v[32:33]
	v_ldexp_f64 v[32:33], v[34:35], s11
	v_cndmask_b32_e32 v31, v33, v31, vcc
	v_cndmask_b32_e32 v30, v32, v30, vcc
	ds_write_b64 v50, v[30:31] offset:2048
.LBB2_238:                              ;   in Loop: Header=BB2_27 Depth=2
	s_or_b64 exec, exec, s[0:1]
	s_waitcnt lgkmcnt(0)
	s_barrier
	ds_read_b32 v32, v50 offset:4096
	ds_read_b64 v[30:31], v50 offset:2048
	s_waitcnt lgkmcnt(1)
	v_ashrrev_i32_e32 v33, 31, v32
	v_lshlrev_b64 v[32:33], 3, v[32:33]
	v_lshl_add_u64 v[32:33], s[20:21], 0, v[32:33]
	global_load_dwordx2 v[32:33], v[32:33], off offset:-8
	s_waitcnt lgkmcnt(0)
	s_barrier
	s_and_saveexec_b64 s[0:1], s[8:9]
	s_cbranch_execz .LBB2_241
; %bb.239:                              ;   in Loop: Header=BB2_27 Depth=2
	s_waitcnt vmcnt(0)
	v_cmp_nle_f64_e32 vcc, 0, v[32:33]
	s_and_b64 s[18:19], vcc, exec
	s_mov_b32 s11, 0xbff00000
	s_cselect_b32 s19, s11, 0x3ff00000
	s_mov_b32 s18, s39
	v_div_scale_f64 v[32:33], s[26:27], v[30:31], v[30:31], s[18:19]
	v_rcp_f64_e32 v[34:35], v[32:33]
	v_mov_b32_e32 v2, v0
	v_fma_f64 v[36:37], -v[32:33], v[34:35], 1.0
	v_fmac_f64_e32 v[34:35], v[34:35], v[36:37]
	v_fma_f64 v[36:37], -v[32:33], v[34:35], 1.0
	v_fmac_f64_e32 v[34:35], v[34:35], v[36:37]
	v_div_scale_f64 v[36:37], vcc, s[18:19], v[30:31], s[18:19]
	v_mul_f64 v[38:39], v[36:37], v[34:35]
	v_fma_f64 v[32:33], -v[32:33], v[38:39], v[36:37]
	s_nop 1
	v_div_fmas_f64 v[32:33], v[32:33], v[34:35], v[38:39]
	v_div_fixup_f64 v[30:31], v[32:33], v[30:31], s[18:19]
	s_mov_b64 s[18:19], 0
	v_mov_b64_e32 v[32:33], v[8:9]
.LBB2_240:                              ;   Parent Loop BB2_17 Depth=1
                                        ;     Parent Loop BB2_27 Depth=2
                                        ; =>    This Inner Loop Header: Depth=3
	global_load_dwordx2 v[34:35], v[32:33], off
	v_add_u32_e32 v2, 0x100, v2
	v_cmp_lt_i32_e32 vcc, s96, v2
	s_or_b64 s[18:19], vcc, s[18:19]
	s_waitcnt vmcnt(0)
	v_mul_f64 v[34:35], v[30:31], v[34:35]
	global_store_dwordx2 v[32:33], v[34:35], off
	v_lshl_add_u64 v[32:33], v[32:33], 0, s[86:87]
	s_andn2_b64 exec, exec, s[18:19]
	s_cbranch_execnz .LBB2_240
.LBB2_241:                              ;   in Loop: Header=BB2_27 Depth=2
	s_or_b64 exec, exec, s[0:1]
	s_barrier
	v_mov_b64_e32 v[30:31], v[28:29]
	s_and_saveexec_b64 s[18:19], s[98:99]
	s_cbranch_execz .LBB2_26
.LBB2_242:                              ;   in Loop: Header=BB2_27 Depth=2
	s_mov_b64 s[26:27], 0
	v_mov_b32_e32 v28, v0
	s_branch .LBB2_244
.LBB2_243:                              ;   in Loop: Header=BB2_244 Depth=3
	s_or_b64 exec, exec, s[0:1]
	v_add_u32_e32 v34, s10, v28
	v_add_u32_e32 v28, 0x100, v28
	v_ashrrev_i32_e32 v35, 31, v34
	v_cmp_le_i32_e32 vcc, s24, v28
	v_lshl_add_u64 v[34:35], v[34:35], 3, s[28:29]
	s_or_b64 s[26:27], vcc, s[26:27]
	s_waitcnt vmcnt(0)
	global_store_dwordx2 v[34:35], v[32:33], off
	s_andn2_b64 exec, exec, s[26:27]
	s_cbranch_execz .LBB2_26
.LBB2_244:                              ;   Parent Loop BB2_17 Depth=1
                                        ;     Parent Loop BB2_27 Depth=2
                                        ; =>    This Inner Loop Header: Depth=3
	v_cmp_le_i32_e32 vcc, s92, v28
	v_cmp_gt_i32_e64 s[0:1], s94, v28
	s_and_b64 s[30:31], vcc, s[0:1]
	s_waitcnt vmcnt(0)
	v_mov_b64_e32 v[32:33], 0
	s_and_saveexec_b64 s[0:1], s[30:31]
	s_cbranch_execz .LBB2_243
; %bb.245:                              ;   in Loop: Header=BB2_244 Depth=3
	v_add_u32_e32 v2, s95, v28
	v_lshl_add_u64 v[32:33], v[2:3], 3, s[20:21]
	global_load_dwordx2 v[32:33], v[32:33], off
	s_branch .LBB2_243
.LBB2_246:
	s_and_saveexec_b64 s[0:1], s[16:17]
	s_cbranch_execz .LBB2_248
; %bb.247:
	v_mov_b32_e32 v0, 0
	ds_read_b32 v1, v0
	v_readlane_b32 s0, v64, 0
	v_readlane_b32 s1, v64, 1
	s_add_u32 s0, s42, s0
	s_addc_u32 s1, s43, s1
	s_waitcnt lgkmcnt(0)
	s_nop 1
	global_store_dword v0, v1, s[0:1]
.LBB2_248:
	s_endpgm
	.section	.rodata,"a",@progbits
	.p2align	6, 0x0
	.amdhsa_kernel _ZN9rocsolver6v33100L12stein_kernelIddPdEEviPT0_lS4_lPiS4_lS5_lS5_lT1_iilS5_lS5_S4_S5_S3_S3_
		.amdhsa_group_segment_fixed_size 8
		.amdhsa_private_segment_fixed_size 0
		.amdhsa_kernarg_size 176
		.amdhsa_user_sgpr_count 2
		.amdhsa_user_sgpr_dispatch_ptr 0
		.amdhsa_user_sgpr_queue_ptr 0
		.amdhsa_user_sgpr_kernarg_segment_ptr 1
		.amdhsa_user_sgpr_dispatch_id 0
		.amdhsa_user_sgpr_kernarg_preload_length 0
		.amdhsa_user_sgpr_kernarg_preload_offset 0
		.amdhsa_user_sgpr_private_segment_size 0
		.amdhsa_uses_dynamic_stack 0
		.amdhsa_enable_private_segment 0
		.amdhsa_system_sgpr_workgroup_id_x 1
		.amdhsa_system_sgpr_workgroup_id_y 1
		.amdhsa_system_sgpr_workgroup_id_z 0
		.amdhsa_system_sgpr_workgroup_info 0
		.amdhsa_system_vgpr_workitem_id 0
		.amdhsa_next_free_vgpr 65
		.amdhsa_next_free_sgpr 100
		.amdhsa_accum_offset 68
		.amdhsa_reserve_vcc 1
		.amdhsa_float_round_mode_32 0
		.amdhsa_float_round_mode_16_64 0
		.amdhsa_float_denorm_mode_32 3
		.amdhsa_float_denorm_mode_16_64 3
		.amdhsa_dx10_clamp 1
		.amdhsa_ieee_mode 1
		.amdhsa_fp16_overflow 0
		.amdhsa_tg_split 0
		.amdhsa_exception_fp_ieee_invalid_op 0
		.amdhsa_exception_fp_denorm_src 0
		.amdhsa_exception_fp_ieee_div_zero 0
		.amdhsa_exception_fp_ieee_overflow 0
		.amdhsa_exception_fp_ieee_underflow 0
		.amdhsa_exception_fp_ieee_inexact 0
		.amdhsa_exception_int_div_zero 0
	.end_amdhsa_kernel
	.section	.text._ZN9rocsolver6v33100L12stein_kernelIddPdEEviPT0_lS4_lPiS4_lS5_lS5_lT1_iilS5_lS5_S4_S5_S3_S3_,"axG",@progbits,_ZN9rocsolver6v33100L12stein_kernelIddPdEEviPT0_lS4_lPiS4_lS5_lS5_lT1_iilS5_lS5_S4_S5_S3_S3_,comdat
.Lfunc_end2:
	.size	_ZN9rocsolver6v33100L12stein_kernelIddPdEEviPT0_lS4_lPiS4_lS5_lS5_lT1_iilS5_lS5_S4_S5_S3_S3_, .Lfunc_end2-_ZN9rocsolver6v33100L12stein_kernelIddPdEEviPT0_lS4_lPiS4_lS5_lS5_lT1_iilS5_lS5_S4_S5_S3_S3_
                                        ; -- End function
	.set _ZN9rocsolver6v33100L12stein_kernelIddPdEEviPT0_lS4_lPiS4_lS5_lS5_lT1_iilS5_lS5_S4_S5_S3_S3_.num_vgpr, 65
	.set _ZN9rocsolver6v33100L12stein_kernelIddPdEEviPT0_lS4_lPiS4_lS5_lS5_lT1_iilS5_lS5_S4_S5_S3_S3_.num_agpr, 0
	.set _ZN9rocsolver6v33100L12stein_kernelIddPdEEviPT0_lS4_lPiS4_lS5_lS5_lT1_iilS5_lS5_S4_S5_S3_S3_.numbered_sgpr, 100
	.set _ZN9rocsolver6v33100L12stein_kernelIddPdEEviPT0_lS4_lPiS4_lS5_lS5_lT1_iilS5_lS5_S4_S5_S3_S3_.num_named_barrier, 0
	.set _ZN9rocsolver6v33100L12stein_kernelIddPdEEviPT0_lS4_lPiS4_lS5_lS5_lT1_iilS5_lS5_S4_S5_S3_S3_.private_seg_size, 0
	.set _ZN9rocsolver6v33100L12stein_kernelIddPdEEviPT0_lS4_lPiS4_lS5_lS5_lT1_iilS5_lS5_S4_S5_S3_S3_.uses_vcc, 1
	.set _ZN9rocsolver6v33100L12stein_kernelIddPdEEviPT0_lS4_lPiS4_lS5_lS5_lT1_iilS5_lS5_S4_S5_S3_S3_.uses_flat_scratch, 0
	.set _ZN9rocsolver6v33100L12stein_kernelIddPdEEviPT0_lS4_lPiS4_lS5_lS5_lT1_iilS5_lS5_S4_S5_S3_S3_.has_dyn_sized_stack, 0
	.set _ZN9rocsolver6v33100L12stein_kernelIddPdEEviPT0_lS4_lPiS4_lS5_lS5_lT1_iilS5_lS5_S4_S5_S3_S3_.has_recursion, 0
	.set _ZN9rocsolver6v33100L12stein_kernelIddPdEEviPT0_lS4_lPiS4_lS5_lS5_lT1_iilS5_lS5_S4_S5_S3_S3_.has_indirect_call, 0
	.section	.AMDGPU.csdata,"",@progbits
; Kernel info:
; codeLenInByte = 10576
; TotalNumSgprs: 106
; NumVgprs: 65
; NumAgprs: 0
; TotalNumVgprs: 65
; ScratchSize: 0
; MemoryBound: 1
; FloatMode: 240
; IeeeMode: 1
; LDSByteSize: 8 bytes/workgroup (compile time only)
; SGPRBlocks: 13
; VGPRBlocks: 8
; NumSGPRsForWavesPerEU: 106
; NumVGPRsForWavesPerEU: 65
; AccumOffset: 68
; Occupancy: 7
; WaveLimiterHint : 1
; COMPUTE_PGM_RSRC2:SCRATCH_EN: 0
; COMPUTE_PGM_RSRC2:USER_SGPR: 2
; COMPUTE_PGM_RSRC2:TRAP_HANDLER: 0
; COMPUTE_PGM_RSRC2:TGID_X_EN: 1
; COMPUTE_PGM_RSRC2:TGID_Y_EN: 1
; COMPUTE_PGM_RSRC2:TGID_Z_EN: 0
; COMPUTE_PGM_RSRC2:TIDIG_COMP_CNT: 0
; COMPUTE_PGM_RSRC3_GFX90A:ACCUM_OFFSET: 16
; COMPUTE_PGM_RSRC3_GFX90A:TG_SPLIT: 0
	.section	.text._ZN9rocsolver6v33100L12stein_kernelI19rocblas_complex_numIfEfPS3_EEviPT0_lS6_lPiS6_lS7_lS7_lT1_iilS7_lS7_S6_S7_S5_S5_,"axG",@progbits,_ZN9rocsolver6v33100L12stein_kernelI19rocblas_complex_numIfEfPS3_EEviPT0_lS6_lPiS6_lS7_lS7_lT1_iilS7_lS7_S6_S7_S5_S5_,comdat
	.globl	_ZN9rocsolver6v33100L12stein_kernelI19rocblas_complex_numIfEfPS3_EEviPT0_lS6_lPiS6_lS7_lS7_lT1_iilS7_lS7_S6_S7_S5_S5_ ; -- Begin function _ZN9rocsolver6v33100L12stein_kernelI19rocblas_complex_numIfEfPS3_EEviPT0_lS6_lPiS6_lS7_lS7_lT1_iilS7_lS7_S6_S7_S5_S5_
	.p2align	8
	.type	_ZN9rocsolver6v33100L12stein_kernelI19rocblas_complex_numIfEfPS3_EEviPT0_lS6_lPiS6_lS7_lS7_lT1_iilS7_lS7_S6_S7_S5_S5_,@function
_ZN9rocsolver6v33100L12stein_kernelI19rocblas_complex_numIfEfPS3_EEviPT0_lS6_lPiS6_lS7_lS7_lT1_iilS7_lS7_S6_S7_S5_S5_: ; @_ZN9rocsolver6v33100L12stein_kernelI19rocblas_complex_numIfEfPS3_EEviPT0_lS6_lPiS6_lS7_lS7_lT1_iilS7_lS7_S6_S7_S5_S5_
; %bb.0:
	s_load_dwordx16 s[36:51], s[0:1], 0x8
	s_mov_b32 s2, s3
	s_ashr_i32 s3, s3, 31
	s_lshl_b64 s[6:7], s[2:3], 2
	s_waitcnt lgkmcnt(0)
	s_add_u32 s4, s44, s6
	s_addc_u32 s5, s45, s7
	s_load_dword s26, s[4:5], 0x0
	s_waitcnt lgkmcnt(0)
	s_cmp_lt_i32 s26, 1
	s_cbranch_scc1 .LBB3_268
; %bb.1:
	s_load_dwordx8 s[16:23], s[0:1], 0x70
	s_load_dwordx4 s[12:15], s[0:1], 0x90
                                        ; implicit-def: $vgpr48 : SGPR spill to VGPR lane
	s_mov_b64 s[24:25], 0
	v_writelane_b32 v48, s6, 0
	s_waitcnt lgkmcnt(0)
	s_cmp_eq_u64 s[18:19], 0
	v_writelane_b32 v48, s7, 1
	s_cbranch_scc1 .LBB3_3
; %bb.2:
	s_mul_i32 s4, s20, s3
	s_mul_hi_u32 s5, s20, s2
	s_add_i32 s4, s5, s4
	s_mul_i32 s5, s21, s2
	s_add_i32 s5, s4, s5
	s_mul_i32 s4, s20, s2
	s_lshl_b64 s[4:5], s[4:5], 2
	s_add_u32 s24, s18, s4
	s_addc_u32 s25, s19, s5
.LBB3_3:
	v_writelane_b32 v48, s16, 2
	s_nop 1
	v_writelane_b32 v48, s17, 3
	v_writelane_b32 v48, s18, 4
	;; [unrolled: 1-line block ×7, first 2 shown]
	v_cmp_eq_u32_e64 s[18:19], 0, v0
	s_and_saveexec_b64 s[4:5], s[18:19]
; %bb.4:
	v_mov_b32_e32 v1, 0
	ds_write_b32 v1, v1
; %bb.5:
	s_or_b64 exec, exec, s[4:5]
	s_cmp_lg_u64 s[24:25], 0
	s_cselect_b64 s[20:21], -1, 0
	v_cmp_gt_u32_e32 vcc, s26, v0
	s_and_b64 s[6:7], vcc, s[20:21]
	s_and_saveexec_b64 s[4:5], s[6:7]
	s_cbranch_execz .LBB3_13
; %bb.6:
	v_xad_u32 v1, v0, -1, s26
	s_movk_i32 s6, 0xff
	v_cmp_lt_u32_e32 vcc, s6, v1
	s_mov_b64 s[8:9], -1
	v_mov_b32_e32 v2, v0
	s_and_saveexec_b64 s[6:7], vcc
	s_cbranch_execz .LBB3_10
; %bb.7:
	v_lshrrev_b32_e32 v1, 8, v1
	v_add_u32_e32 v6, 1, v1
	v_and_b32_e32 v7, 0x1fffffe, v6
	v_or_b32_e32 v1, 0x100, v0
	s_mov_b64 s[8:9], 0
	v_mov_b32_e32 v3, 0
	v_mov_b32_e32 v8, v7
	v_mov_b64_e32 v[4:5], v[0:1]
.LBB3_8:                                ; =>This Inner Loop Header: Depth=1
	v_mov_b32_e32 v2, v4
	v_add_u32_e32 v8, -2, v8
	v_lshl_add_u64 v[10:11], v[2:3], 2, s[24:25]
	v_mov_b32_e32 v2, v5
	v_cmp_eq_u32_e32 vcc, 0, v8
	v_add_u32_e32 v4, 0x200, v4
	v_add_u32_e32 v5, 0x200, v5
	v_lshl_add_u64 v[12:13], v[2:3], 2, s[24:25]
	s_or_b64 s[8:9], vcc, s[8:9]
	global_store_dword v[10:11], v3, off
	global_store_dword v[12:13], v3, off
	s_andn2_b64 exec, exec, s[8:9]
	s_cbranch_execnz .LBB3_8
; %bb.9:
	s_or_b64 exec, exec, s[8:9]
	v_cmp_ne_u32_e32 vcc, v6, v7
	v_lshl_or_b32 v2, v7, 8, v0
	s_orn2_b64 s[8:9], vcc, exec
.LBB3_10:
	s_or_b64 exec, exec, s[6:7]
	s_and_b64 exec, exec, s[8:9]
	s_cbranch_execz .LBB3_13
; %bb.11:
	v_mov_b32_e32 v3, 0
	v_lshl_add_u64 v[4:5], v[2:3], 2, s[24:25]
	s_mov_b64 s[6:7], 0
	s_mov_b64 s[8:9], 0x400
.LBB3_12:                               ; =>This Inner Loop Header: Depth=1
	v_add_u32_e32 v2, 0x100, v2
	v_cmp_le_i32_e32 vcc, s26, v2
	global_store_dword v[4:5], v3, off
	s_or_b64 s[6:7], vcc, s[6:7]
	v_lshl_add_u64 v[4:5], v[4:5], 0, s[8:9]
	s_andn2_b64 exec, exec, s[6:7]
	s_cbranch_execnz .LBB3_12
.LBB3_13:
	v_writelane_b32 v48, s24, 10
	s_nop 1
	v_writelane_b32 v48, s25, 11
	s_or_b64 exec, exec, s[4:5]
	s_load_dwordx8 s[4:11], s[0:1], 0x48
	s_mov_b32 s31, 0
	s_mov_b32 s27, s31
	v_mov_b32_e32 v3, 0
	s_waitcnt lgkmcnt(0)
	s_mul_i32 s16, s4, s3
	s_mul_hi_u32 s17, s4, s2
	s_mul_i32 s5, s5, s2
	s_add_i32 s16, s17, s16
	s_mul_i32 s4, s4, s2
	s_add_i32 s5, s16, s5
	s_lshl_b64 s[4:5], s[4:5], 2
	s_add_u32 s33, s50, s4
	s_addc_u32 s68, s51, s5
	s_lshl_b64 s[4:5], s[26:27], 2
	s_add_u32 s4, s33, s4
	s_addc_u32 s5, s68, s5
	v_writelane_b32 v48, s4, 12
	s_nop 1
	v_writelane_b32 v48, s5, 13
	s_nop 1
	global_load_dword v14, v3, s[4:5] offset:-4
	s_waitcnt vmcnt(0)
	v_cmp_gt_i32_e32 vcc, 1, v14
	s_cbranch_vccnz .LBB3_266
; %bb.14:
	s_load_dword s44, s[0:1], 0x0
	s_mul_i32 s4, s38, s3
	s_load_dwordx2 s[50:51], s[0:1], 0x68
	s_load_dwordx2 s[52:53], s[0:1], 0xa0
	s_mul_hi_u32 s0, s38, s2
	s_add_i32 s0, s0, s4
	s_mul_i32 s1, s39, s2
	s_add_i32 s1, s0, s1
	s_mul_i32 s0, s38, s2
	s_waitcnt lgkmcnt(0)
	s_ashr_i32 s45, s44, 31
	s_lshl_b64 s[0:1], s[0:1], 2
	s_add_u32 s36, s36, s0
	s_addc_u32 s37, s37, s1
	s_mul_i32 s0, s42, s3
	s_mul_hi_u32 s1, s42, s2
	s_add_i32 s0, s1, s0
	s_mul_i32 s1, s43, s2
	s_add_i32 s1, s0, s1
	s_mul_i32 s0, s42, s2
	s_lshl_b64 s[0:1], s[0:1], 2
	s_add_u32 s22, s40, s0
	s_addc_u32 s23, s41, s1
	s_mul_i32 s0, s48, s3
	s_mul_hi_u32 s1, s48, s2
	s_add_i32 s0, s1, s0
	s_mul_i32 s1, s49, s2
	s_add_i32 s1, s0, s1
	s_mul_i32 s0, s48, s2
	;; [unrolled: 9-line block ×3, first 2 shown]
	s_lshl_b64 s[0:1], s[0:1], 2
	s_mul_i32 s5, s44, 5
	s_add_u32 s91, s6, s0
	s_addc_u32 s24, s7, s1
	s_mul_hi_i32 s1, s5, s2
	s_mul_i32 s0, s5, s2
	s_lshl_b64 s[0:1], s[0:1], 2
	v_readlane_b32 s56, v48, 2
	s_add_u32 s40, s12, s0
	s_mul_hi_i32 s5, s44, s2
	s_mul_i32 s4, s44, s2
	v_readlane_b32 s57, v48, 3
	s_addc_u32 s41, s13, s1
	s_lshl_b64 s[4:5], s[4:5], 2
	s_mov_b64 s[8:9], s[56:57]
	s_add_u32 s42, s14, s4
	s_mul_i32 s3, s8, s3
	s_mul_hi_u32 s6, s8, s2
	s_addc_u32 s43, s15, s5
	s_add_i32 s3, s6, s3
	s_mul_i32 s6, s9, s2
	s_add_i32 s3, s3, s6
	s_mul_i32 s2, s8, s2
	s_ashr_i32 s5, s50, 31
	s_lshl_b64 s[2:3], s[2:3], 3
	s_mov_b32 s4, s50
	s_add_u32 s6, s10, s2
	s_addc_u32 s7, s11, s3
	s_lshl_b64 s[2:3], s[4:5], 3
	s_add_u32 s46, s6, s2
	s_mul_i32 s4, s44, 3
	s_addc_u32 s47, s7, s3
	s_ashr_i32 s5, s4, 31
	s_mov_b32 s2, s4
	s_lshl_b64 s[4:5], s[4:5], 2
	v_readlane_b32 s58, v48, 4
	v_readlane_b32 s59, v48, 5
	;; [unrolled: 1-line block ×6, first 2 shown]
	v_writelane_b32 v48, s2, 14
	s_add_u32 s54, s40, s4
	s_addc_u32 s55, s41, s5
	v_writelane_b32 v48, s3, 15
	s_lshl_b64 s[2:3], s[44:45], 3
	s_sub_u32 s50, 0, s2
	s_subb_u32 s28, 0, s3
	s_add_u32 s56, s54, s50
	s_addc_u32 s57, s55, s28
	s_lshl_b64 s[6:7], s[44:45], 2
	s_add_u32 s58, s56, s6
	s_addc_u32 s59, s57, s7
	s_add_u32 s60, s58, s2
	v_max_f32_e64 v1, s52, s52
	s_addc_u32 s61, s59, s3
	v_max_f32_e32 v28, 0, v1
	v_div_scale_f32 v1, s[2:3], s53, s53, 1.0
	v_rcp_f32_e32 v4, v1
	s_and_b64 s[62:63], s[18:19], s[20:21]
	s_add_u32 s6, s22, 4
	v_writelane_b32 v48, s6, 16
	s_addc_u32 s6, s23, 0
	v_writelane_b32 v48, s6, 17
	s_add_u32 s6, s36, 4
	v_fma_f32 v5, -v1, v4, 1.0
	v_writelane_b32 v48, s6, 18
	s_addc_u32 s6, s37, 0
	v_fmac_f32_e32 v4, v5, v4
	v_div_scale_f32 v5, vcc, 1.0, s53, 1.0
	s_add_u32 s0, s0, s4
	v_mul_f32_e32 v6, v5, v4
	s_addc_u32 s1, s1, s5
	v_fma_f32 v7, -v1, v6, v5
	s_add_u32 s0, s12, s0
	v_fmac_f32_e32 v6, v7, v4
	s_addc_u32 s1, s13, s1
	s_lshl_b32 s29, s44, 1
	v_fma_f32 v1, -v1, v6, v5
	v_add_u32_e32 v12, s44, v0
	s_add_u32 s64, s0, 8
	v_div_fmas_f32 v1, v1, v4, v6
	v_writelane_b32 v48, s6, 19
	v_ashrrev_i32_e32 v13, 31, v12
	s_addc_u32 s65, s1, 0
	v_lshlrev_b32_e32 v2, 2, v0
	s_movk_i32 s2, 0x80
	v_div_fixup_f32 v4, v1, s53, 1.0
	v_lshl_add_u64 v[12:13], v[12:13], 2, s[40:41]
	s_add_u32 s66, s40, 4
	s_mov_b32 s70, 0xff800000
	v_writelane_b32 v48, s22, 20
	v_add_u32_e32 v29, 8, v2
	v_cmp_gt_u32_e64 s[2:3], s2, v0
	v_not_b32_e32 v30, v0
	v_or_b32_e32 v1, 0x100, v0
	v_mov_b32_e32 v5, v4
	v_mov_b64_e32 v[6:7], v[2:3]
	v_lshl_add_u64 v[8:9], s[40:41], 0, v[2:3]
	v_lshl_add_u64 v[10:11], s[0:1], 0, v[2:3]
	;; [unrolled: 1-line block ×3, first 2 shown]
	s_addc_u32 s67, s41, 0
	s_brev_b32 s45, -2
	v_mov_b32_e32 v31, 0x260
	v_mov_b32_e32 v32, 1.0
	s_mov_b32 s71, 0x41dfffff
	s_mov_b32 s38, 0x41200000
	v_mov_b32_e32 v33, 1
	v_mov_b32_e32 v34, 8
	s_mov_b32 s39, 0
	v_cmp_gt_u32_e64 s[4:5], 64, v0
	v_cmp_gt_i32_e64 s[6:7], s44, v0
	s_mov_b64 s[72:73], 0x400
	s_mov_b32 s74, s31
	v_writelane_b32 v48, s23, 21
                                        ; implicit-def: $vgpr35
                                        ; implicit-def: $vgpr38
                                        ; implicit-def: $vgpr37
                                        ; implicit-def: $sgpr77
                                        ; implicit-def: $vgpr36
	v_writelane_b32 v48, s24, 22
	s_branch .LBB3_17
.LBB3_15:                               ;   in Loop: Header=BB3_17 Depth=1
	v_readlane_b32 s0, v48, 12
	v_readlane_b32 s1, v48, 13
	;; [unrolled: 1-line block ×3, first 2 shown]
	s_mov_b32 s39, s20
	v_readlane_b32 s23, v48, 21
	v_readlane_b32 s24, v48, 22
	s_nop 0
	global_load_dword v14, v3, s[0:1] offset:-4
.LBB3_16:                               ;   in Loop: Header=BB3_17 Depth=1
	s_add_i32 s74, s74, 1
	s_waitcnt vmcnt(0)
	v_cmp_ge_i32_e32 vcc, s74, v14
	s_cbranch_vccnz .LBB3_266
.LBB3_17:                               ; =>This Loop Header: Depth=1
                                        ;     Child Loop BB3_22 Depth 2
                                        ;     Child Loop BB3_26 Depth 2
                                        ;       Child Loop BB3_36 Depth 3
                                        ;       Child Loop BB3_39 Depth 3
	;; [unrolled: 1-line block ×5, first 2 shown]
                                        ;         Child Loop BB3_109 Depth 4
                                        ;         Child Loop BB3_115 Depth 4
	;; [unrolled: 1-line block ×5, first 2 shown]
                                        ;           Child Loop BB3_135 Depth 5
                                        ;         Child Loop BB3_153 Depth 4
                                        ;           Child Loop BB3_154 Depth 5
                                        ;           Child Loop BB3_156 Depth 5
                                        ;         Child Loop BB3_161 Depth 4
                                        ;       Child Loop BB3_202 Depth 3
                                        ;       Child Loop BB3_239 Depth 3
	;; [unrolled: 1-line block ×5, first 2 shown]
	s_mov_b32 s76, 0
	s_cmp_eq_u32 s74, 0
	s_mov_b64 s[0:1], 0
	s_cbranch_scc1 .LBB3_19
; %bb.18:                               ;   in Loop: Header=BB3_17 Depth=1
	s_mov_b32 s75, s31
	s_lshl_b64 s[0:1], s[74:75], 2
	s_add_u32 s0, s91, s0
	s_addc_u32 s1, s24, s1
	global_load_dword v2, v3, s[0:1] offset:-4
	s_mov_b64 s[0:1], s[74:75]
	s_waitcnt vmcnt(0)
	v_readfirstlane_b32 s76, v2
.LBB3_19:                               ;   in Loop: Header=BB3_17 Depth=1
	s_lshl_b64 s[0:1], s[0:1], 2
	s_add_u32 s0, s91, s0
	s_addc_u32 s1, s24, s1
	global_load_dword v2, v3, s[0:1]
	s_not_b32 s0, s76
	s_waitcnt vmcnt(0)
	v_readfirstlane_b32 s78, v2
	s_add_i32 s80, s0, s78
	s_sub_i32 s75, s78, s76
	s_cmp_lt_i32 s80, 1
	s_cselect_b64 s[82:83], -1, 0
	s_and_b64 vcc, exec, s[82:83]
	s_cbranch_vccnz .LBB3_24
; %bb.20:                               ;   in Loop: Header=BB3_17 Depth=1
	s_ashr_i32 s77, s76, 31
	s_lshl_b64 s[0:1], s[76:77], 2
	s_add_u32 s8, s36, s0
	s_addc_u32 s9, s37, s1
	s_add_u32 s12, s22, s0
	s_addc_u32 s13, s23, s1
	s_ashr_i32 s79, s78, 31
	s_lshl_b64 s[14:15], s[78:79], 2
	s_add_u32 s16, s36, s14
	s_addc_u32 s17, s37, s15
	s_add_i32 s10, s78, -2
	s_add_u32 s14, s22, s14
	s_addc_u32 s15, s23, s15
	global_load_dword v15, v3, s[8:9]
	global_load_dword v2, v3, s[12:13]
	global_load_dword v17, v3, s[16:17] offset:-4
	global_load_dword v19, v3, s[14:15] offset:-8
	s_cmp_ge_i32 s76, s10
	s_waitcnt vmcnt(3)
	v_and_b32_e32 v16, 0x7fffffff, v15
	s_waitcnt vmcnt(2)
	v_and_b32_e32 v18, 0x7fffffff, v2
	;; [unrolled: 2-line block ×4, first 2 shown]
	v_pk_add_f32 v[16:17], v[16:17], v[18:19]
	s_nop 0
	v_cmp_lt_f32_e32 vcc, v16, v17
	s_nop 1
	v_cndmask_b32_e32 v36, v16, v17, vcc
	s_cbranch_scc1 .LBB3_23
; %bb.21:                               ;   in Loop: Header=BB3_17 Depth=1
	v_readlane_b32 s8, v48, 16
	s_add_u32 s8, s8, s0
	v_readlane_b32 s9, v48, 17
	s_addc_u32 s9, s9, s1
	v_readlane_b32 s11, v48, 18
	s_add_u32 s0, s11, s0
	v_readlane_b32 s11, v48, 19
	s_addc_u32 s1, s11, s1
	s_mov_b32 s11, s76
.LBB3_22:                               ;   Parent Loop BB3_17 Depth=1
                                        ; =>  This Inner Loop Header: Depth=2
	global_load_dword v15, v3, s[0:1]
	s_add_i32 s11, s11, 1
	s_waitcnt vmcnt(0)
	v_add_f32_e64 v15, |v2|, |v15|
	global_load_dword v2, v3, s[8:9]
	s_add_u32 s8, s8, 4
	s_addc_u32 s9, s9, 0
	s_add_u32 s0, s0, 4
	s_addc_u32 s1, s1, 0
	s_cmp_lt_i32 s11, s10
	s_waitcnt vmcnt(0)
	v_add_f32_e64 v15, v15, |v2|
	v_cmp_lt_f32_e32 vcc, v36, v15
	s_nop 1
	v_cndmask_b32_e32 v36, v36, v15, vcc
	s_cbranch_scc1 .LBB3_22
.LBB3_23:                               ;   in Loop: Header=BB3_17 Depth=1
	s_mov_b32 s8, 0x9999999a
	v_cvt_f64_u32_e32 v[16:17], s75
	s_mov_b32 s9, 0x3fb99999
	v_div_scale_f64 v[18:19], s[0:1], v[16:17], v[16:17], s[8:9]
	v_rcp_f64_e32 v[20:21], v[18:19]
	v_div_scale_f64 v[22:23], vcc, s[8:9], v[16:17], s[8:9]
	s_mov_b32 s0, 0
	v_fma_f64 v[24:25], -v[18:19], v[20:21], 1.0
	v_fmac_f64_e32 v[20:21], v[20:21], v[24:25]
	v_fma_f64 v[24:25], -v[18:19], v[20:21], 1.0
	v_fmac_f64_e32 v[20:21], v[20:21], v[24:25]
	v_mul_f64 v[24:25], v[22:23], v[20:21]
	v_fma_f64 v[18:19], -v[18:19], v[24:25], v[22:23]
	v_div_fmas_f64 v[18:19], v[18:19], v[20:21], v[24:25]
	v_div_fixup_f64 v[16:17], v[18:19], v[16:17], s[8:9]
	s_brev_b32 s1, 8
	v_cmp_gt_f64_e32 vcc, s[0:1], v[16:17]
	s_and_b64 s[0:1], vcc, exec
	s_cselect_b32 s0, 0x100, 0
	v_ldexp_f64 v[16:17], v[16:17], s0
	v_rsq_f64_e32 v[18:19], v[16:17]
	s_cselect_b32 s0, 0xffffff80, 0
	v_cmp_class_f64_e32 vcc, v[16:17], v31
	v_mul_f32_e32 v37, 0x3a83126f, v36
	v_mul_f64 v[20:21], v[16:17], v[18:19]
	v_mul_f64 v[18:19], v[18:19], 0.5
	v_fma_f64 v[22:23], -v[18:19], v[20:21], 0.5
	v_fmac_f64_e32 v[20:21], v[20:21], v[22:23]
	v_fma_f64 v[24:25], -v[20:21], v[20:21], v[16:17]
	v_fmac_f64_e32 v[18:19], v[18:19], v[22:23]
	v_fmac_f64_e32 v[20:21], v[24:25], v[18:19]
	v_fma_f64 v[22:23], -v[20:21], v[20:21], v[16:17]
	v_fmac_f64_e32 v[20:21], v[22:23], v[18:19]
	v_ldexp_f64 v[18:19], v[20:21], s0
	v_cndmask_b32_e32 v17, v19, v17, vcc
	v_cndmask_b32_e32 v16, v18, v16, vcc
	v_cvt_f32_f64_e32 v38, v[16:17]
	s_mov_b32 s77, s39
.LBB3_24:                               ;   in Loop: Header=BB3_17 Depth=1
	s_cmp_ge_i32 s39, s26
	s_cbranch_scc1 .LBB3_16
; %bb.25:                               ;   in Loop: Header=BB3_17 Depth=1
	s_ashr_i32 s79, s78, 31
	s_lshl_b64 s[0:1], s[78:79], 2
	s_add_u32 s0, s36, s0
	s_addc_u32 s1, s37, s1
	v_writelane_b32 v48, s0, 23
	v_cvt_f32_u32_e32 v2, s75
	s_mov_b32 s81, s31
	v_writelane_b32 v48, s1, 24
	v_add_u32_e32 v16, s76, v0
	v_readlane_b32 s0, v48, 14
	v_readlane_b32 s1, v48, 15
	s_add_i32 s0, s80, s0
	s_ashr_i32 s1, s0, 31
	s_lshl_b64 s[0:1], s[0:1], 2
	s_add_u32 s86, s40, s0
	s_addc_u32 s87, s41, s1
	s_lshl_b64 s[0:1], s[80:81], 2
	s_add_u32 s88, s42, s0
	s_addc_u32 s89, s43, s1
	s_add_i32 s79, s80, -1
	v_mul_f32_e32 v39, v36, v2
	v_add_u32_e32 v2, s78, v30
	s_add_u32 s0, s54, s0
	v_subrev_u32_e32 v2, s76, v2
	s_addc_u32 s1, s55, s1
	v_lshrrev_b32_e32 v14, 8, v2
	v_writelane_b32 v48, s0, 25
	v_add_u32_e32 v15, 1, v14
	v_ashrrev_i32_e32 v17, 31, v16
	v_writelane_b32 v48, s1, 26
	s_cmp_gt_u32 s75, 2
	s_movk_i32 s0, 0xff
	v_and_b32_e32 v40, 0x1fffffe, v15
	v_lshlrev_b64 v[18:19], 2, v[16:17]
	v_cmp_ge_i32_e64 s[8:9], s80, v0
	v_cmp_gt_i32_e64 s[10:11], s80, v0
	v_cmp_gt_u32_e64 s[12:13], s75, v0
	s_cselect_b64 s[92:93], -1, 0
	v_cmp_lt_u32_e64 s[14:15], s0, v2
	v_lshl_or_b32 v14, v40, 8, v0
	v_cmp_ne_u32_e64 s[16:17], v15, v40
	v_lshl_add_u64 v[16:17], s[36:37], 0, v[18:19]
	v_lshl_add_u64 v[18:19], s[22:23], 0, v[18:19]
	s_mov_b32 s84, 0
	s_sub_i32 s81, 0, s76
	s_mul_i32 s85, s51, s39
	v_mov_b32_e32 v41, s75
	v_mov_b32_e32 v2, v35
	s_mov_b32 s94, s39
.LBB3_26:                               ;   Parent Loop BB3_17 Depth=1
                                        ; =>  This Loop Header: Depth=2
                                        ;       Child Loop BB3_36 Depth 3
                                        ;       Child Loop BB3_39 Depth 3
	;; [unrolled: 1-line block ×5, first 2 shown]
                                        ;         Child Loop BB3_109 Depth 4
                                        ;         Child Loop BB3_115 Depth 4
	;; [unrolled: 1-line block ×5, first 2 shown]
                                        ;           Child Loop BB3_135 Depth 5
                                        ;         Child Loop BB3_153 Depth 4
                                        ;           Child Loop BB3_154 Depth 5
                                        ;           Child Loop BB3_156 Depth 5
                                        ;         Child Loop BB3_161 Depth 4
                                        ;       Child Loop BB3_202 Depth 3
                                        ;       Child Loop BB3_239 Depth 3
                                        ;       Child Loop BB3_252 Depth 3
                                        ;       Child Loop BB3_258 Depth 3
                                        ;       Child Loop BB3_262 Depth 3
	s_ashr_i32 s95, s94, 31
	s_lshl_b64 s[20:21], s[94:95], 2
	s_add_u32 s0, s33, s20
	s_addc_u32 s1, s68, s21
	global_load_dword v15, v3, s[0:1]
	s_mov_b64 s[0:1], -1
	s_waitcnt vmcnt(0)
	v_add_u32_e32 v15, -1, v15
	v_cmp_ne_u32_e32 vcc, s74, v15
	s_cbranch_vccnz .LBB3_30
; %bb.27:                               ;   in Loop: Header=BB3_26 Depth=2
	s_add_u32 s0, s27, s20
	s_addc_u32 s1, s69, s21
	global_load_dword v35, v3, s[0:1]
	s_mov_b64 s[0:1], -1
	s_and_b64 vcc, exec, s[82:83]
	s_cbranch_vccnz .LBB3_31
; %bb.28:                               ;   in Loop: Header=BB3_26 Depth=2
	s_and_b64 vcc, exec, s[0:1]
	s_cbranch_vccnz .LBB3_34
.LBB3_29:                               ;   in Loop: Header=BB3_26 Depth=2
	s_and_saveexec_b64 s[20:21], s[6:7]
	s_cbranch_execnz .LBB3_260
	s_branch .LBB3_264
.LBB3_30:                               ;   in Loop: Header=BB3_26 Depth=2
	s_mov_b32 s20, s94
	v_mov_b32_e32 v35, v2
                                        ; implicit-def: $sgpr84
                                        ; implicit-def: $sgpr85
	s_and_b64 vcc, exec, s[0:1]
	s_cbranch_vccz .LBB3_265
	s_branch .LBB3_15
.LBB3_31:                               ;   in Loop: Header=BB3_26 Depth=2
	s_and_saveexec_b64 s[0:1], s[18:19]
	s_cbranch_execz .LBB3_33
; %bb.32:                               ;   in Loop: Header=BB3_26 Depth=2
	global_store_dword v3, v32, s[40:41]
.LBB3_33:                               ;   in Loop: Header=BB3_26 Depth=2
	s_or_b64 exec, exec, s[0:1]
	s_barrier
	s_branch .LBB3_29
.LBB3_34:                               ;   in Loop: Header=BB3_26 Depth=2
	s_and_saveexec_b64 s[0:1], s[8:9]
	s_cbranch_execz .LBB3_37
; %bb.35:                               ;   in Loop: Header=BB3_26 Depth=2
	s_mul_i32 s20, s74, s26
	s_add_i32 s20, s94, s20
	v_lshl_or_b32 v20, s20, 8, v0
	v_sub_u32_e32 v15, 0x7ffffffe, v20
	v_sub_u32_e32 v21, 0xf7, v20
	s_mov_b32 s20, 0x7fffff07
	v_max_u32_e32 v21, 1, v21
	v_cmp_gt_u32_e32 vcc, s20, v15
	s_mov_b32 s20, 0x7ffffffe
	s_nop 0
	v_cndmask_b32_e32 v15, v21, v15, vcc
	v_cmp_ne_u32_e32 vcc, s20, v20
	v_add_u32_e32 v20, 1, v20
	s_mov_b32 s20, 0x40000001
	v_mul_hi_i32 v21, v20, s20
	v_lshrrev_b32_e32 v22, 31, v21
	v_ashrrev_i32_e32 v21, 29, v21
	v_add_u32_e32 v21, v21, v22
	v_mul_lo_u32 v21, v21, s45
	v_sub_u32_e32 v20, v20, v21
	v_cndmask_b32_e32 v15, 1, v15, vcc
	v_max_i32_e32 v23, 1, v20
	s_mov_b64 s[20:21], 0
	v_mov_b64_e32 v[20:21], v[8:9]
	v_mov_b32_e32 v22, v0
.LBB3_36:                               ;   Parent Loop BB3_17 Depth=1
                                        ;     Parent Loop BB3_26 Depth=2
                                        ; =>    This Inner Loop Header: Depth=3
	s_mov_b32 s22, 0x5e4789c9
	s_mov_b32 s23, 0x4f7a09cd
	v_mul_hi_i32 v24, v23, s22
	v_mul_hi_i32 v25, v15, s23
	v_lshrrev_b32_e32 v26, 31, v24
	v_ashrrev_i32_e32 v24, 14, v24
	v_lshrrev_b32_e32 v27, 31, v25
	v_ashrrev_i32_e32 v25, 14, v25
	v_add_u32_e32 v24, v24, v26
	v_add_u32_e32 v25, v25, v27
	v_mul_i32_i24_e32 v26, 0xadc8, v24
	v_mul_i32_i24_e32 v27, 0xce26, v25
	s_mov_b32 s24, 0xbc8f
	s_mov_b32 s25, 0x9ef4
	v_sub_u32_e32 v23, v23, v26
	v_sub_u32_e32 v15, v15, v27
	s_movk_i32 s30, 0xf2b9
	s_movk_i32 s34, 0xf131
	v_mul_lo_u32 v23, v23, s24
	v_mul_lo_u32 v15, v15, s25
	v_mad_i32_i24 v23, v24, s30, v23
	v_mad_i32_i24 v15, v25, s34, v15
	v_ashrrev_i32_e32 v24, 31, v23
	v_ashrrev_i32_e32 v25, 31, v15
	v_and_b32_e32 v24, 0x7fffffff, v24
	v_and_b32_e32 v25, 0x7fffff07, v25
	v_add_u32_e32 v23, v24, v23
	v_add_u32_e32 v15, v25, v15
	v_sub_u32_e32 v24, v23, v15
	v_ashrrev_i32_e32 v25, 31, v24
	v_and_b32_e32 v25, 0x7fffffff, v25
	v_add_u32_e32 v24, v25, v24
	v_cvt_f64_i32_e32 v[24:25], v24
	v_div_scale_f64 v[26:27], s[22:23], s[70:71], s[70:71], v[24:25]
	v_rcp_f64_e32 v[42:43], v[26:27]
	v_add_u32_e32 v22, 0x100, v22
	v_cmp_lt_i32_e32 vcc, s80, v22
	s_or_b64 s[20:21], vcc, s[20:21]
	v_fma_f64 v[46:47], -v[26:27], v[42:43], 1.0
	v_fmac_f64_e32 v[42:43], v[42:43], v[46:47]
	v_fma_f64 v[46:47], -v[26:27], v[42:43], 1.0
	v_div_scale_f64 v[44:45], vcc, v[24:25], s[70:71], v[24:25]
	v_fmac_f64_e32 v[42:43], v[42:43], v[46:47]
	v_mul_f64 v[46:47], v[44:45], v[42:43]
	v_fma_f64 v[26:27], -v[26:27], v[46:47], v[44:45]
	s_nop 0
	v_div_fmas_f64 v[26:27], v[26:27], v[42:43], v[46:47]
	v_div_fixup_f64 v[24:25], v[26:27], s[70:71], v[24:25]
	v_cvt_f32_f64_e32 v24, v[24:25]
	global_store_dword v[20:21], v24, off
	v_lshl_add_u64 v[20:21], v[20:21], 0, s[72:73]
	s_andn2_b64 exec, exec, s[20:21]
	s_cbranch_execnz .LBB3_36
.LBB3_37:                               ;   in Loop: Header=BB3_26 Depth=2
	s_or_b64 exec, exec, s[0:1]
	s_and_saveexec_b64 s[0:1], s[10:11]
	s_cbranch_execz .LBB3_40
; %bb.38:                               ;   in Loop: Header=BB3_26 Depth=2
	s_mov_b64 s[20:21], 0
	v_mov_b64_e32 v[20:21], v[18:19]
	v_mov_b64_e32 v[22:23], v[16:17]
	;; [unrolled: 1-line block ×4, first 2 shown]
	v_mov_b32_e32 v15, v0
.LBB3_39:                               ;   Parent Loop BB3_17 Depth=1
                                        ;     Parent Loop BB3_26 Depth=2
                                        ; =>    This Inner Loop Header: Depth=3
	global_load_dword v42, v[22:23], off
	v_lshl_add_u64 v[22:23], v[22:23], 0, s[72:73]
	s_waitcnt vmcnt(0)
	global_store_dword v[26:27], v42, off
	global_load_dword v44, v[20:21], off
	v_add_u32_e32 v42, s29, v15
	v_add_u32_e32 v15, 0x100, v15
	v_ashrrev_i32_e32 v43, 31, v42
	v_cmp_le_i32_e32 vcc, s80, v15
	v_lshl_add_u64 v[42:43], v[42:43], 2, s[40:41]
	s_or_b64 s[20:21], vcc, s[20:21]
	v_lshl_add_u64 v[26:27], v[26:27], 0, s[72:73]
	v_lshl_add_u64 v[20:21], v[20:21], 0, s[72:73]
	s_waitcnt vmcnt(0)
	global_store_dword v[42:43], v44, off
	global_store_dword v[24:25], v44, off
	v_lshl_add_u64 v[24:25], v[24:25], 0, s[72:73]
	s_andn2_b64 exec, exec, s[20:21]
	s_cbranch_execnz .LBB3_39
.LBB3_40:                               ;   in Loop: Header=BB3_26 Depth=2
	s_or_b64 exec, exec, s[0:1]
	s_and_saveexec_b64 s[0:1], s[18:19]
	s_cbranch_execz .LBB3_42
; %bb.41:                               ;   in Loop: Header=BB3_26 Depth=2
	v_readlane_b32 s20, v48, 23
	v_readlane_b32 s21, v48, 24
	s_nop 4
	global_load_dword v15, v3, s[20:21] offset:-4
	s_waitcnt vmcnt(0)
	global_store_dword v3, v15, s[86:87]
.LBB3_42:                               ;   in Loop: Header=BB3_26 Depth=2
	s_or_b64 exec, exec, s[0:1]
	s_waitcnt vmcnt(0)
	v_mul_f32_e32 v15, s52, v35
	s_cmp_lg_u32 s84, 0
	v_mul_f32_e64 v20, |v15|, s38
	v_sub_f32_e32 v21, v35, v2
	s_cselect_b64 s[96:97], -1, 0
	s_cmp_eq_u32 s84, 0
	v_fma_f32 v15, |v15|, s38, v2
	v_cmp_lt_f32_e32 vcc, v21, v20
	s_barrier
	s_nop 0
	v_cndmask_b32_e32 v15, v35, v15, vcc
	s_cselect_b64 vcc, -1, 0
	v_cndmask_b32_e32 v35, v15, v35, vcc
	s_and_saveexec_b64 s[0:1], s[18:19]
	s_cbranch_execz .LBB3_69
; %bb.43:                               ;   in Loop: Header=BB3_26 Depth=2
	global_load_dword v15, v3, s[54:55]
	s_mov_b64 s[20:21], 0
	s_mov_b32 s30, 1
	global_store_dword v3, v3, s[88:89]
	s_waitcnt vmcnt(1)
	v_sub_f32_e32 v15, v15, v35
	global_store_dword v3, v15, s[54:55]
	global_load_dword v20, v3, s[56:57] offset:4
	s_waitcnt vmcnt(0)
	v_add_f32_e64 v15, |v15|, |v20|
	s_branch .LBB3_45
.LBB3_44:                               ;   in Loop: Header=BB3_45 Depth=3
	s_add_u32 s20, s20, 4
	s_addc_u32 s21, s21, 0
	s_add_i32 s30, s30, 1
	s_cmp_eq_u32 s75, s30
	s_cbranch_scc1 .LBB3_66
.LBB3_45:                               ;   Parent Loop BB3_17 Depth=1
                                        ;     Parent Loop BB3_26 Depth=2
                                        ; =>    This Inner Loop Header: Depth=3
	s_add_i32 s34, s30, -1
	s_add_u32 s22, s54, s20
	s_addc_u32 s23, s55, s21
	global_load_dword v20, v3, s[22:23] offset:4
	s_add_u32 s98, s58, s20
	s_addc_u32 s99, s59, s21
	s_cmp_lt_u32 s34, s79
	s_cselect_b64 s[24:25], -1, 0
	s_cmp_ge_u32 s34, s79
	s_waitcnt vmcnt(0)
	v_sub_f32_e32 v22, v20, v35
	global_store_dword v3, v22, s[22:23] offset:4
	global_load_dword v23, v3, s[98:99]
	s_waitcnt vmcnt(0)
	v_add_f32_e64 v20, |v22|, |v23|
	s_cbranch_scc1 .LBB3_47
; %bb.46:                               ;   in Loop: Header=BB3_45 Depth=3
	s_add_u32 s34, s56, s20
	s_addc_u32 s35, s57, s21
	global_load_dword v21, v3, s[34:35] offset:8
	s_waitcnt vmcnt(0)
	v_add_f32_e64 v20, v20, |v21|
.LBB3_47:                               ;   in Loop: Header=BB3_45 Depth=3
	global_load_dword v24, v3, s[22:23]
	s_waitcnt vmcnt(0)
	v_cmp_eq_f32_e32 vcc, 0, v24
	s_cbranch_vccnz .LBB3_58
; %bb.48:                               ;   in Loop: Header=BB3_45 Depth=3
	v_and_b32_e32 v21, 0x7fffffff, v24
	v_div_scale_f32 v25, s[34:35], v15, v15, v21
	v_rcp_f32_e32 v26, v25
	v_div_scale_f32 v21, vcc, v21, v15, v21
	v_fma_f32 v27, -v25, v26, 1.0
	v_fmac_f32_e32 v26, v27, v26
	v_mul_f32_e32 v27, v21, v26
	v_fma_f32 v42, -v25, v27, v21
	v_fmac_f32_e32 v27, v42, v26
	v_fma_f32 v21, -v25, v27, v21
	v_div_fmas_f32 v21, v21, v26, v27
	v_div_fixup_f32 v21, v21, v15, |v24|
	v_cmp_neq_f32_e32 vcc, 0, v23
	s_cbranch_vccz .LBB3_59
.LBB3_49:                               ;   in Loop: Header=BB3_45 Depth=3
	v_and_b32_e32 v25, 0x7fffffff, v23
	v_div_scale_f32 v26, s[34:35], v20, v20, v25
	v_rcp_f32_e32 v27, v26
	v_div_scale_f32 v25, vcc, v25, v20, v25
	s_add_u32 s48, s42, s20
	v_fma_f32 v42, -v26, v27, 1.0
	v_fmac_f32_e32 v27, v42, v27
	v_mul_f32_e32 v42, v25, v27
	v_fma_f32 v43, -v26, v42, v25
	v_fmac_f32_e32 v42, v43, v27
	v_fma_f32 v25, -v26, v42, v25
	v_div_fmas_f32 v25, v25, v27, v42
	v_div_fixup_f32 v25, v25, v20, |v23|
	v_cmp_nle_f32_e32 vcc, v25, v21
	s_addc_u32 s49, s43, s21
	s_mov_b64 s[34:35], -1
	s_cbranch_vccnz .LBB3_53
; %bb.50:                               ;   in Loop: Header=BB3_45 Depth=3
	v_div_scale_f32 v26, s[34:35], v24, v24, v23
	v_rcp_f32_e32 v27, v26
	v_div_scale_f32 v42, vcc, v23, v24, v23
	s_add_u32 s34, s56, s20
	v_fma_f32 v43, -v26, v27, 1.0
	v_fmac_f32_e32 v27, v43, v27
	v_mul_f32_e32 v43, v42, v27
	v_fma_f32 v44, -v26, v43, v42
	v_fmac_f32_e32 v43, v44, v27
	v_fma_f32 v26, -v26, v43, v42
	v_div_fmas_f32 v26, v26, v27, v43
	v_div_fixup_f32 v26, v26, v24, v23
	global_store_dword v3, v26, s[98:99]
	s_addc_u32 s35, s57, s21
	global_load_dword v27, v3, s[22:23] offset:4
	global_load_dword v42, v3, s[34:35] offset:4
	s_andn2_b64 vcc, exec, s[24:25]
	global_store_dword v3, v3, s[48:49]
	s_waitcnt vmcnt(1)
	v_fma_f32 v26, -v26, v42, v27
	global_store_dword v3, v26, s[22:23] offset:4
	s_cbranch_vccnz .LBB3_52
; %bb.51:                               ;   in Loop: Header=BB3_45 Depth=3
	s_add_u32 s34, s60, s20
	s_addc_u32 s35, s61, s21
	global_store_dword v3, v3, s[34:35]
.LBB3_52:                               ;   in Loop: Header=BB3_45 Depth=3
	s_mov_b64 s[34:35], 0
.LBB3_53:                               ;   in Loop: Header=BB3_45 Depth=3
	s_andn2_b64 vcc, exec, s[34:35]
	v_mov_b32_e32 v26, v20
	s_cbranch_vccnz .LBB3_57
; %bb.54:                               ;   in Loop: Header=BB3_45 Depth=3
	s_add_u32 s34, s56, s20
	global_store_dword v3, v23, s[22:23]
	s_addc_u32 s35, s57, s21
	global_load_dword v26, v3, s[34:35] offset:4
	v_div_scale_f32 v43, vcc, v24, v23, v24
	global_store_dword v3, v33, s[48:49]
	v_div_scale_f32 v27, s[48:49], v23, v23, v24
	v_rcp_f32_e32 v42, v27
	s_nop 0
	v_fma_f32 v44, -v27, v42, 1.0
	v_fmac_f32_e32 v42, v44, v42
	v_mul_f32_e32 v44, v43, v42
	v_fma_f32 v45, -v27, v44, v43
	v_fmac_f32_e32 v44, v45, v42
	v_fma_f32 v27, -v27, v44, v43
	v_div_fmas_f32 v27, v27, v42, v44
	v_div_fixup_f32 v23, v27, v23, v24
	s_andn2_b64 vcc, exec, s[24:25]
	s_waitcnt vmcnt(1)
	v_fma_f32 v24, -v22, v23, v26
	global_store_dword v3, v24, s[22:23] offset:4
	s_cbranch_vccnz .LBB3_56
; %bb.55:                               ;   in Loop: Header=BB3_45 Depth=3
	global_load_dword v24, v3, s[34:35] offset:8
	s_add_u32 s22, s60, s20
	s_addc_u32 s23, s61, s21
	s_waitcnt vmcnt(0)
	global_store_dword v3, v24, s[22:23]
	v_mul_f32_e64 v24, v24, -v23
	global_store_dword v3, v24, s[34:35] offset:8
.LBB3_56:                               ;   in Loop: Header=BB3_45 Depth=3
	v_mov_b32_e32 v26, v15
	global_store_dword v3, v22, s[34:35] offset:4
	global_store_dword v3, v23, s[98:99]
.LBB3_57:                               ;   in Loop: Header=BB3_45 Depth=3
	v_mov_b32_e32 v15, v26
	s_cbranch_execz .LBB3_60
	s_branch .LBB3_63
.LBB3_58:                               ;   in Loop: Header=BB3_45 Depth=3
	v_mov_b32_e32 v21, 0
	v_cmp_neq_f32_e32 vcc, 0, v23
	s_cbranch_vccnz .LBB3_49
.LBB3_59:                               ;   in Loop: Header=BB3_45 Depth=3
                                        ; implicit-def: $vgpr25
                                        ; implicit-def: $vgpr15
.LBB3_60:                               ;   in Loop: Header=BB3_45 Depth=3
	s_add_u32 s22, s42, s20
	s_addc_u32 s23, s43, s21
	s_andn2_b64 vcc, exec, s[24:25]
	global_store_dword v3, v3, s[22:23]
	s_cbranch_vccnz .LBB3_62
; %bb.61:                               ;   in Loop: Header=BB3_45 Depth=3
	s_add_u32 s22, s60, s20
	s_addc_u32 s23, s61, s21
	global_store_dword v3, v3, s[22:23]
.LBB3_62:                               ;   in Loop: Header=BB3_45 Depth=3
	v_mov_b32_e32 v25, 0
	v_mov_b32_e32 v15, v20
.LBB3_63:                               ;   in Loop: Header=BB3_45 Depth=3
	v_max_f32_e32 v20, v25, v25
	v_max_f32_e32 v21, v21, v21
	;; [unrolled: 1-line block ×3, first 2 shown]
	v_cmp_nle_f32_e32 vcc, v20, v28
	s_cbranch_vccnz .LBB3_44
; %bb.64:                               ;   in Loop: Header=BB3_45 Depth=3
	global_load_dword v20, v3, s[88:89]
	s_waitcnt vmcnt(0)
	v_cmp_ne_u32_e32 vcc, 0, v20
	s_cbranch_vccnz .LBB3_44
; %bb.65:                               ;   in Loop: Header=BB3_45 Depth=3
	v_mov_b32_e32 v20, s30
	global_store_dword v3, v20, s[88:89]
	s_branch .LBB3_44
.LBB3_66:                               ;   in Loop: Header=BB3_26 Depth=2
	v_readlane_b32 s20, v48, 25
	v_readlane_b32 s21, v48, 26
	v_mul_f32_e32 v15, v28, v15
	s_nop 3
	global_load_dword v20, v3, s[20:21]
	s_waitcnt vmcnt(0)
	v_cmp_le_f32_e64 s[20:21], |v20|, v15
	s_and_b64 vcc, exec, s[20:21]
	s_cbranch_vccz .LBB3_69
; %bb.67:                               ;   in Loop: Header=BB3_26 Depth=2
	global_load_dword v15, v3, s[88:89]
	s_waitcnt vmcnt(0)
	v_cmp_ne_u32_e32 vcc, 0, v15
	s_cbranch_vccnz .LBB3_69
; %bb.68:                               ;   in Loop: Header=BB3_26 Depth=2
	global_store_dword v3, v41, s[88:89]
.LBB3_69:                               ;   in Loop: Header=BB3_26 Depth=2
	s_or_b64 exec, exec, s[0:1]
	v_sub_f32_e32 v2, v35, v2
	v_cmp_gt_f32_e64 s[98:99], |v2|, v37
	s_mov_b32 s95, 0
	s_mov_b32 s90, 0
	v_mov_b32_e32 v2, 0
	v_bfrev_b32_e32 v15, -2
	s_and_saveexec_b64 s[20:21], s[12:13]
	s_cbranch_execz .LBB3_73
.LBB3_70:                               ;   in Loop: Header=BB3_26 Depth=2
	v_mov_b32_e32 v2, 0
	v_bfrev_b32_e32 v15, -2
	s_mov_b64 s[22:23], 0
	v_mov_b64_e32 v[20:21], v[8:9]
	v_mov_b32_e32 v22, v0
.LBB3_71:                               ;   Parent Loop BB3_17 Depth=1
                                        ;     Parent Loop BB3_26 Depth=2
                                        ; =>    This Inner Loop Header: Depth=3
	global_load_dword v23, v[20:21], off
	v_cmp_eq_u32_e32 vcc, s45, v15
	v_add_u32_e32 v24, 1, v22
	v_add_u32_e32 v22, 0x100, v22
	v_cmp_le_u32_e64 s[0:1], s75, v22
	v_lshl_add_u64 v[20:21], v[20:21], 0, s[72:73]
	s_waitcnt vmcnt(0)
	v_cmp_lt_f32_e64 s[24:25], v2, |v23|
	s_or_b64 vcc, s[24:25], vcc
	v_cndmask_b32_e64 v2, v2, |v23|, vcc
	s_or_b64 s[22:23], s[0:1], s[22:23]
	v_cndmask_b32_e32 v15, v15, v24, vcc
	s_andn2_b64 exec, exec, s[22:23]
	s_cbranch_execnz .LBB3_71
; %bb.72:                               ;   in Loop: Header=BB3_26 Depth=2
	s_or_b64 exec, exec, s[22:23]
.LBB3_73:                               ;   Parent Loop BB3_17 Depth=1
                                        ;     Parent Loop BB3_26 Depth=2
                                        ; =>    This Loop Header: Depth=3
                                        ;         Child Loop BB3_109 Depth 4
                                        ;         Child Loop BB3_115 Depth 4
	;; [unrolled: 1-line block ×5, first 2 shown]
                                        ;           Child Loop BB3_135 Depth 5
                                        ;         Child Loop BB3_153 Depth 4
                                        ;           Child Loop BB3_154 Depth 5
                                        ;           Child Loop BB3_156 Depth 5
                                        ;         Child Loop BB3_161 Depth 4
	s_or_b64 exec, exec, s[20:21]
	ds_write2st64_b32 v29, v2, v15 offset1:8
	s_waitcnt lgkmcnt(0)
	s_barrier
	s_and_saveexec_b64 s[20:21], s[2:3]
	s_cbranch_execz .LBB3_79
; %bb.74:                               ;   in Loop: Header=BB3_73 Depth=3
	ds_read2st64_b32 v[20:21], v29 offset0:2 offset1:10
	s_waitcnt lgkmcnt(0)
	v_cmp_lt_f32_e64 s[22:23], v2, v20
	v_cmp_nlt_f32_e32 vcc, v2, v20
	s_and_saveexec_b64 s[24:25], vcc
; %bb.75:                               ;   in Loop: Header=BB3_73 Depth=3
	v_cmp_eq_f32_e32 vcc, v2, v20
	v_cmp_gt_i32_e64 s[0:1], v15, v21
	s_and_b64 s[0:1], vcc, s[0:1]
	s_andn2_b64 s[22:23], s[22:23], exec
	s_and_b64 s[0:1], s[0:1], exec
	s_or_b64 s[22:23], s[22:23], s[0:1]
; %bb.76:                               ;   in Loop: Header=BB3_73 Depth=3
	s_or_b64 exec, exec, s[24:25]
	s_and_saveexec_b64 s[0:1], s[22:23]
; %bb.77:                               ;   in Loop: Header=BB3_73 Depth=3
	v_mov_b32_e32 v15, v21
	v_mov_b32_e32 v2, v20
	ds_write2st64_b32 v29, v20, v21 offset1:8
; %bb.78:                               ;   in Loop: Header=BB3_73 Depth=3
	s_or_b64 exec, exec, s[0:1]
.LBB3_79:                               ;   in Loop: Header=BB3_73 Depth=3
	s_or_b64 exec, exec, s[20:21]
	s_waitcnt lgkmcnt(0)
	s_barrier
	s_and_saveexec_b64 s[24:25], s[4:5]
	s_cbranch_execz .LBB3_106
; %bb.80:                               ;   in Loop: Header=BB3_73 Depth=3
	ds_read2st64_b32 v[20:21], v29 offset0:1 offset1:9
	s_waitcnt lgkmcnt(0)
	v_cmp_lt_f32_e64 s[20:21], v2, v20
	v_cmp_nlt_f32_e32 vcc, v2, v20
	s_and_saveexec_b64 s[22:23], vcc
; %bb.81:                               ;   in Loop: Header=BB3_73 Depth=3
	v_cmp_eq_f32_e32 vcc, v2, v20
	v_cmp_gt_i32_e64 s[0:1], v15, v21
	s_and_b64 s[0:1], vcc, s[0:1]
	s_andn2_b64 s[20:21], s[20:21], exec
	s_and_b64 s[0:1], s[0:1], exec
	s_or_b64 s[20:21], s[20:21], s[0:1]
; %bb.82:                               ;   in Loop: Header=BB3_73 Depth=3
	s_or_b64 exec, exec, s[22:23]
	s_and_saveexec_b64 s[0:1], s[20:21]
; %bb.83:                               ;   in Loop: Header=BB3_73 Depth=3
	v_mov_b32_e32 v2, v20
	v_mov_b32_e32 v15, v21
	ds_write2st64_b32 v29, v20, v21 offset1:8
; %bb.84:                               ;   in Loop: Header=BB3_73 Depth=3
	s_or_b64 exec, exec, s[0:1]
	v_add_u32_e32 v20, 0x80, v29
	ds_read2st64_b32 v[20:21], v20 offset1:8
	s_waitcnt lgkmcnt(0)
	v_cmp_lt_f32_e64 s[20:21], v2, v20
	v_cmp_nlt_f32_e32 vcc, v2, v20
	s_and_saveexec_b64 s[22:23], vcc
; %bb.85:                               ;   in Loop: Header=BB3_73 Depth=3
	v_cmp_eq_f32_e32 vcc, v2, v20
	v_cmp_gt_i32_e64 s[0:1], v15, v21
	s_and_b64 s[0:1], vcc, s[0:1]
	s_andn2_b64 s[20:21], s[20:21], exec
	s_and_b64 s[0:1], s[0:1], exec
	s_or_b64 s[20:21], s[20:21], s[0:1]
; %bb.86:                               ;   in Loop: Header=BB3_73 Depth=3
	s_or_b64 exec, exec, s[22:23]
	s_and_saveexec_b64 s[0:1], s[20:21]
; %bb.87:                               ;   in Loop: Header=BB3_73 Depth=3
	v_mov_b32_e32 v2, v20
	v_mov_b32_e32 v15, v21
	ds_write2st64_b32 v29, v20, v21 offset1:8
; %bb.88:                               ;   in Loop: Header=BB3_73 Depth=3
	s_or_b64 exec, exec, s[0:1]
	v_add_u32_e32 v20, 64, v29
	ds_read2st64_b32 v[20:21], v20 offset1:8
	;; [unrolled: 22-line block ×4, first 2 shown]
	s_waitcnt lgkmcnt(0)
	v_cmp_lt_f32_e64 s[20:21], v2, v20
	v_cmp_nlt_f32_e32 vcc, v2, v20
	s_and_saveexec_b64 s[22:23], vcc
; %bb.97:                               ;   in Loop: Header=BB3_73 Depth=3
	v_cmp_eq_f32_e32 vcc, v2, v20
	v_cmp_gt_i32_e64 s[0:1], v15, v21
	s_and_b64 s[0:1], vcc, s[0:1]
	s_andn2_b64 s[20:21], s[20:21], exec
	s_and_b64 s[0:1], s[0:1], exec
	s_or_b64 s[20:21], s[20:21], s[0:1]
; %bb.98:                               ;   in Loop: Header=BB3_73 Depth=3
	s_or_b64 exec, exec, s[22:23]
	s_and_saveexec_b64 s[0:1], s[20:21]
; %bb.99:                               ;   in Loop: Header=BB3_73 Depth=3
	v_mov_b32_e32 v2, v20
	v_mov_b32_e32 v15, v21
	ds_write2st64_b32 v29, v20, v21 offset1:8
; %bb.100:                              ;   in Loop: Header=BB3_73 Depth=3
	s_or_b64 exec, exec, s[0:1]
	v_add_u32_e32 v20, 8, v29
	ds_read2st64_b32 v[20:21], v20 offset1:8
	s_waitcnt lgkmcnt(0)
	v_cmp_lt_f32_e64 s[20:21], v2, v20
	v_cmp_nlt_f32_e32 vcc, v2, v20
	s_and_saveexec_b64 s[22:23], vcc
; %bb.101:                              ;   in Loop: Header=BB3_73 Depth=3
	v_cmp_eq_f32_e32 vcc, v2, v20
	v_cmp_gt_i32_e64 s[0:1], v15, v21
	s_and_b64 s[0:1], vcc, s[0:1]
	s_andn2_b64 s[20:21], s[20:21], exec
	s_and_b64 s[0:1], s[0:1], exec
	s_or_b64 s[20:21], s[20:21], s[0:1]
; %bb.102:                              ;   in Loop: Header=BB3_73 Depth=3
	s_or_b64 exec, exec, s[22:23]
	s_and_saveexec_b64 s[0:1], s[20:21]
; %bb.103:                              ;   in Loop: Header=BB3_73 Depth=3
	v_mov_b32_e32 v2, v20
	v_mov_b32_e32 v15, v21
	ds_write2st64_b32 v29, v20, v21 offset1:8
; %bb.104:                              ;   in Loop: Header=BB3_73 Depth=3
	s_or_b64 exec, exec, s[0:1]
	v_add_u32_e32 v20, 4, v29
	ds_read2st64_b32 v[20:21], v20 offset1:8
	s_waitcnt lgkmcnt(0)
	v_cmp_eq_f32_e64 s[0:1], v2, v20
	v_cmp_gt_i32_e64 s[20:21], v15, v21
	v_cmp_lt_f32_e32 vcc, v2, v20
	s_and_b64 s[0:1], s[0:1], s[20:21]
	s_or_b64 s[0:1], vcc, s[0:1]
	s_and_b64 exec, exec, s[0:1]
; %bb.105:                              ;   in Loop: Header=BB3_73 Depth=3
	ds_write2st64_b32 v29, v20, v21 offset1:8
.LBB3_106:                              ;   in Loop: Header=BB3_73 Depth=3
	s_or_b64 exec, exec, s[24:25]
	s_waitcnt lgkmcnt(0)
	s_barrier
	s_and_saveexec_b64 s[0:1], s[8:9]
	s_cbranch_execz .LBB3_116
; %bb.107:                              ;   in Loop: Header=BB3_73 Depth=3
	global_load_dword v2, v3, s[86:87]
	ds_read_b32 v20, v34
	v_mov_b32_e32 v15, s52
	s_mov_b64 s[22:23], -1
	s_waitcnt vmcnt(0)
	v_cmp_lt_f32_e64 s[20:21], s52, |v2|
	s_nop 1
	v_cndmask_b32_e64 v2, v15, |v2|, s[20:21]
	v_mul_f32_e32 v15, v39, v2
	s_waitcnt lgkmcnt(0)
	v_div_scale_f32 v21, s[20:21], v20, v20, v15
	v_rcp_f32_e32 v22, v21
	v_div_scale_f32 v23, vcc, v15, v20, v15
	v_mov_b32_e32 v2, v0
	v_fma_f32 v24, -v21, v22, 1.0
	v_fmac_f32_e32 v22, v24, v22
	v_mul_f32_e32 v24, v23, v22
	v_fma_f32 v25, -v21, v24, v23
	v_fmac_f32_e32 v24, v25, v22
	v_fma_f32 v21, -v21, v24, v23
	v_div_fmas_f32 v21, v21, v22, v24
	v_div_fixup_f32 v20, v21, v20, v15
	v_mov_b64_e32 v[22:23], v[6:7]
	s_and_saveexec_b64 s[20:21], s[14:15]
	s_cbranch_execz .LBB3_113
; %bb.108:                              ;   in Loop: Header=BB3_73 Depth=3
	v_mov_b32_e32 v21, v20
	s_mov_b64 s[22:23], 0
	v_mov_b32_e32 v15, v40
	v_mov_b64_e32 v[22:23], v[0:1]
.LBB3_109:                              ;   Parent Loop BB3_17 Depth=1
                                        ;     Parent Loop BB3_26 Depth=2
                                        ;       Parent Loop BB3_73 Depth=3
                                        ; =>      This Inner Loop Header: Depth=4
	v_mov_b32_e32 v2, v22
	v_lshl_add_u64 v[24:25], v[2:3], 2, s[40:41]
	v_mov_b32_e32 v2, v23
	v_lshl_add_u64 v[26:27], v[2:3], 2, s[40:41]
	global_load_dword v42, v[24:25], off
	global_load_dword v43, v[26:27], off
	v_add_u32_e32 v15, -2, v15
	v_cmp_eq_u32_e32 vcc, 0, v15
	v_add_u32_e32 v22, 0x200, v22
	v_add_u32_e32 v23, 0x200, v23
	s_or_b64 s[22:23], vcc, s[22:23]
	s_waitcnt vmcnt(0)
	v_pk_mul_f32 v[42:43], v[20:21], v[42:43]
	global_store_dword v[24:25], v42, off
	global_store_dword v[26:27], v43, off
	s_andn2_b64 exec, exec, s[22:23]
	s_cbranch_execnz .LBB3_109
; %bb.110:                              ;   in Loop: Header=BB3_73 Depth=3
	s_or_b64 exec, exec, s[22:23]
	s_mov_b64 s[22:23], 0
                                        ; implicit-def: $vgpr22_vgpr23
	s_and_saveexec_b64 s[24:25], s[16:17]
; %bb.111:                              ;   in Loop: Header=BB3_73 Depth=3
	v_mov_b32_e32 v15, v3
	s_mov_b64 s[22:23], exec
	v_lshlrev_b64 v[22:23], 2, v[14:15]
; %bb.112:                              ;   in Loop: Header=BB3_73 Depth=3
	s_or_b64 exec, exec, s[24:25]
	s_orn2_b64 s[22:23], s[22:23], exec
	v_mov_b32_e32 v2, v14
.LBB3_113:                              ;   in Loop: Header=BB3_73 Depth=3
	s_or_b64 exec, exec, s[20:21]
	s_and_b64 exec, exec, s[22:23]
	s_cbranch_execz .LBB3_116
; %bb.114:                              ;   in Loop: Header=BB3_73 Depth=3
	v_lshl_add_u64 v[22:23], s[40:41], 0, v[22:23]
	s_mov_b64 s[20:21], 0
.LBB3_115:                              ;   Parent Loop BB3_17 Depth=1
                                        ;     Parent Loop BB3_26 Depth=2
                                        ;       Parent Loop BB3_73 Depth=3
                                        ; =>      This Inner Loop Header: Depth=4
	global_load_dword v15, v[22:23], off
	v_add_u32_e32 v2, 0x100, v2
	v_cmp_lt_i32_e32 vcc, s80, v2
	s_or_b64 s[20:21], vcc, s[20:21]
	s_waitcnt vmcnt(0)
	v_mul_f32_e32 v15, v20, v15
	global_store_dword v[22:23], v15, off
	v_lshl_add_u64 v[22:23], v[22:23], 0, s[72:73]
	s_andn2_b64 exec, exec, s[20:21]
	s_cbranch_execnz .LBB3_115
.LBB3_116:                              ;   in Loop: Header=BB3_73 Depth=3
	s_or_b64 exec, exec, s[0:1]
	s_barrier
	s_and_saveexec_b64 s[20:21], s[18:19]
	s_cbranch_execz .LBB3_149
; %bb.117:                              ;   in Loop: Header=BB3_73 Depth=3
	global_load_dwordx2 v[20:21], v3, s[54:55]
	global_load_dword v2, v3, s[56:57] offset:4
	s_mov_b64 s[0:1], s[60:61]
	s_mov_b64 s[22:23], s[64:65]
	s_andn2_b64 vcc, exec, s[92:93]
	s_mov_b32 s24, s79
	s_waitcnt vmcnt(0)
	v_max3_f32 v2, |v20|, |v21|, |v2|
	s_cbranch_vccnz .LBB3_119
.LBB3_118:                              ;   Parent Loop BB3_17 Depth=1
                                        ;     Parent Loop BB3_26 Depth=2
                                        ;       Parent Loop BB3_73 Depth=3
                                        ; =>      This Inner Loop Header: Depth=4
	s_add_u32 s34, s22, s50
	s_addc_u32 s35, s23, s28
	global_load_dword v15, v3, s[0:1]
	global_load_dword v20, v3, s[22:23]
	;; [unrolled: 1-line block ×3, first 2 shown]
	s_add_i32 s24, s24, -1
	s_add_u32 s22, s22, 4
	s_addc_u32 s23, s23, 0
	s_add_u32 s0, s0, 4
	s_addc_u32 s1, s1, 0
	s_cmp_lg_u32 s24, 0
	s_waitcnt vmcnt(2)
	v_max_f32_e64 v15, |v15|, |v15|
	s_waitcnt vmcnt(0)
	v_max_f32_e64 v21, |v21|, |v21|
	v_max_f32_e32 v15, v21, v15
	v_max3_f32 v2, v2, |v20|, v15
	s_cbranch_scc1 .LBB3_118
.LBB3_119:                              ;   in Loop: Header=BB3_73 Depth=3
	s_mov_b32 s30, s80
	s_mov_b64 s[0:1], s[42:43]
	s_mov_b64 s[22:23], s[58:59]
	;; [unrolled: 1-line block ×3, first 2 shown]
	s_branch .LBB3_121
.LBB3_120:                              ;   in Loop: Header=BB3_121 Depth=4
	s_add_u32 s24, s24, 4
	s_addc_u32 s25, s25, 0
	s_add_u32 s22, s22, 4
	s_addc_u32 s23, s23, 0
	;; [unrolled: 2-line block ×3, first 2 shown]
	s_add_i32 s30, s30, -1
	s_cmp_lg_u32 s30, 0
	s_cbranch_scc0 .LBB3_125
.LBB3_121:                              ;   Parent Loop BB3_17 Depth=1
                                        ;     Parent Loop BB3_26 Depth=2
                                        ;       Parent Loop BB3_73 Depth=3
                                        ; =>      This Inner Loop Header: Depth=4
	global_load_dword v15, v3, s[0:1]
	s_waitcnt vmcnt(0)
	v_cmp_ne_u32_e32 vcc, 0, v15
	s_cbranch_vccz .LBB3_123
; %bb.122:                              ;   in Loop: Header=BB3_121 Depth=4
	global_load_dwordx2 v[20:21], v3, s[24:25] offset:-4
	s_waitcnt vmcnt(0)
	global_store_dword v3, v21, s[24:25] offset:-4
	global_load_dword v15, v3, s[22:23]
	s_waitcnt vmcnt(0)
	v_fma_f32 v15, -v21, v15, v20
	global_store_dword v3, v15, s[24:25]
	s_cbranch_execnz .LBB3_120
	s_branch .LBB3_124
.LBB3_123:                              ;   in Loop: Header=BB3_121 Depth=4
.LBB3_124:                              ;   in Loop: Header=BB3_121 Depth=4
	global_load_dwordx2 v[20:21], v3, s[24:25] offset:-4
	global_load_dword v15, v3, s[22:23]
	s_waitcnt vmcnt(0)
	v_fma_f32 v15, -v15, v20, v21
	global_store_dword v3, v15, s[24:25]
	s_branch .LBB3_120
.LBB3_125:                              ;   in Loop: Header=BB3_73 Depth=3
	v_mul_f32_e32 v2, s52, v2
	v_mov_b32_e32 v15, s52
	v_cmp_eq_f32_e32 vcc, 0, v2
	s_mov_b32 s30, s80
	s_nop 0
	v_cndmask_b32_e32 v2, v2, v15, vcc
	v_and_b32_e32 v15, 0x7fffffff, v2
	s_branch .LBB3_128
.LBB3_126:                              ;   in Loop: Header=BB3_128 Depth=4
	v_mov_b32_e32 v20, v22
.LBB3_127:                              ;   in Loop: Header=BB3_128 Depth=4
	v_div_scale_f32 v21, s[0:1], v23, v23, v20
	v_rcp_f32_e32 v22, v21
	v_div_scale_f32 v24, vcc, v20, v23, v20
	s_add_i32 s0, s30, -1
	v_fma_f32 v25, -v21, v22, 1.0
	v_fmac_f32_e32 v22, v25, v22
	v_mul_f32_e32 v25, v24, v22
	v_fma_f32 v26, -v21, v25, v24
	v_fmac_f32_e32 v25, v26, v22
	v_fma_f32 v21, -v21, v25, v24
	v_div_fmas_f32 v21, v21, v22, v25
	v_div_fixup_f32 v20, v21, v23, v20
	s_cmp_gt_i32 s30, 0
	s_mov_b32 s30, s0
	global_store_dword v3, v20, s[24:25]
	s_cbranch_scc0 .LBB3_149
.LBB3_128:                              ;   Parent Loop BB3_17 Depth=1
                                        ;     Parent Loop BB3_26 Depth=2
                                        ;       Parent Loop BB3_73 Depth=3
                                        ; =>      This Loop Header: Depth=4
                                        ;           Child Loop BB3_135 Depth 5
	s_lshl_b64 s[0:1], s[30:31], 2
	s_add_u32 s24, s40, s0
	s_addc_u32 s25, s41, s1
	global_load_dword v20, v3, s[24:25]
	s_cmp_ge_i32 s30, s80
	s_cbranch_scc1 .LBB3_130
; %bb.129:                              ;   in Loop: Header=BB3_128 Depth=4
	s_add_u32 s22, s56, s0
	s_addc_u32 s23, s57, s1
	global_load_dword v21, v3, s[22:23] offset:4
	global_load_dword v22, v3, s[24:25] offset:4
	s_waitcnt vmcnt(0)
	v_fma_f32 v20, -v21, v22, v20
.LBB3_130:                              ;   in Loop: Header=BB3_128 Depth=4
	s_cmp_ge_i32 s30, s79
	s_cbranch_scc1 .LBB3_132
; %bb.131:                              ;   in Loop: Header=BB3_128 Depth=4
	s_add_u32 s22, s60, s0
	s_addc_u32 s23, s61, s1
	global_load_dword v21, v3, s[22:23]
	global_load_dword v22, v3, s[24:25] offset:8
	s_waitcnt vmcnt(0)
	v_fma_f32 v20, -v21, v22, v20
.LBB3_132:                              ;   in Loop: Header=BB3_128 Depth=4
	s_add_u32 s0, s54, s0
	s_addc_u32 s1, s55, s1
	global_load_dword v23, v3, s[0:1]
	s_waitcnt vmcnt(0)
	v_cmp_nlt_f32_e64 s[0:1], |v23|, 1.0
	s_and_b64 vcc, exec, s[0:1]
	s_cbranch_vccnz .LBB3_127
; %bb.133:                              ;   in Loop: Header=BB3_128 Depth=4
	v_cmp_nle_f32_e32 vcc, 0, v23
	v_and_b32_e32 v25, 0x7fffffff, v23
	v_mul_f32_e64 v22, s53, |v20|
	v_cndmask_b32_e64 v24, |v2|, -v15, vcc
	s_branch .LBB3_135
.LBB3_134:                              ;   in Loop: Header=BB3_135 Depth=5
	v_add_f32_e32 v23, v21, v24
	v_add_f32_e32 v24, v24, v24
	v_and_b32_e32 v25, 0x7fffffff, v23
	v_cmp_nlt_f32_e64 s[34:35], |v23|, 1.0
	s_mov_b64 s[0:1], 0
	s_mov_b64 s[22:23], 0
	s_andn2_b64 vcc, exec, s[34:35]
	s_cbranch_vccz .LBB3_141
.LBB3_135:                              ;   Parent Loop BB3_17 Depth=1
                                        ;     Parent Loop BB3_26 Depth=2
                                        ;       Parent Loop BB3_73 Depth=3
                                        ;         Parent Loop BB3_128 Depth=4
                                        ; =>        This Inner Loop Header: Depth=5
	v_cmp_ngt_f32_e32 vcc, s53, v25
	v_mov_b32_e32 v21, v23
	s_mov_b64 s[22:23], -1
	s_mov_b64 s[0:1], 0
	s_mov_b64 s[34:35], 0
	s_mov_b64 s[48:49], -1
	s_cbranch_vccnz .LBB3_138
; %bb.136:                              ;   in Loop: Header=BB3_135 Depth=5
	s_andn2_b64 vcc, exec, s[48:49]
	s_cbranch_vccz .LBB3_139
.LBB3_137:                              ;   in Loop: Header=BB3_135 Depth=5
	s_andn2_b64 vcc, exec, s[34:35]
	s_cbranch_vccz .LBB3_134
	s_branch .LBB3_140
.LBB3_138:                              ;   in Loop: Header=BB3_135 Depth=5
	v_mul_f32_e32 v23, v4, v25
	v_cmp_gt_f32_e64 s[34:35], |v20|, v23
	s_cbranch_execnz .LBB3_137
.LBB3_139:                              ;   in Loop: Header=BB3_135 Depth=5
	v_cmp_eq_f32_e32 vcc, 0, v21
	v_cmp_gt_f32_e64 s[0:1], v22, v25
	s_or_b64 s[34:35], vcc, s[0:1]
	s_mov_b64 s[22:23], 0
	s_mov_b64 s[0:1], -1
	s_andn2_b64 vcc, exec, s[34:35]
	s_cbranch_vccz .LBB3_134
.LBB3_140:                              ;   in Loop: Header=BB3_128 Depth=4
                                        ; implicit-def: $vgpr24
                                        ; implicit-def: $vgpr23
                                        ; implicit-def: $vgpr25
.LBB3_141:                              ;   in Loop: Header=BB3_128 Depth=4
	s_mov_b64 s[34:35], -1
	s_and_b64 vcc, exec, s[22:23]
	s_cbranch_vccnz .LBB3_147
; %bb.142:                              ;   in Loop: Header=BB3_128 Depth=4
	s_xor_b64 s[22:23], s[0:1], -1
	s_mov_b64 s[0:1], -1
	s_and_b64 vcc, exec, s[22:23]
	s_cbranch_vccz .LBB3_144
; %bb.143:                              ;   in Loop: Header=BB3_128 Depth=4
	s_mov_b64 s[0:1], 0
.LBB3_144:                              ;   in Loop: Header=BB3_128 Depth=4
	s_andn2_b64 vcc, exec, s[0:1]
	v_mov_b32_e32 v22, v20
	s_cbranch_vccnz .LBB3_146
; %bb.145:                              ;   in Loop: Header=BB3_128 Depth=4
	v_pk_mul_f32 v[22:23], v[4:5], v[20:21]
.LBB3_146:                              ;   in Loop: Header=BB3_128 Depth=4
	s_cbranch_execnz .LBB3_126
	s_branch .LBB3_148
.LBB3_147:                              ;   in Loop: Header=BB3_128 Depth=4
                                        ; implicit-def: $vgpr23
	s_andn2_b64 vcc, exec, s[34:35]
	s_cbranch_vccnz .LBB3_126
.LBB3_148:                              ;   in Loop: Header=BB3_128 Depth=4
	v_mov_b32_e32 v23, v21
	v_mov_b32_e32 v22, v20
	s_branch .LBB3_126
.LBB3_149:                              ;   in Loop: Header=BB3_73 Depth=3
	s_or_b64 exec, exec, s[20:21]
	s_andn2_b64 vcc, exec, s[96:97]
	s_barrier
	s_cbranch_vccnz .LBB3_159
; %bb.150:                              ;   in Loop: Header=BB3_73 Depth=3
	s_and_b64 s[0:1], s[98:99], exec
	s_cselect_b32 s24, s94, s77
	s_cmp_eq_u32 s24, s94
	s_mov_b32 s77, s94
	s_cbranch_scc1 .LBB3_159
; %bb.151:                              ;   in Loop: Header=BB3_73 Depth=3
	s_cmp_lt_i32 s24, s94
	s_cselect_b64 s[0:1], -1, 0
	s_and_b64 s[20:21], s[18:19], s[0:1]
	s_and_saveexec_b64 s[0:1], s[20:21]
	s_cbranch_execz .LBB3_158
; %bb.152:                              ;   in Loop: Header=BB3_73 Depth=3
	s_mul_i32 s20, s51, s24
	s_add_i32 s25, s76, s20
	s_mov_b32 s30, s24
.LBB3_153:                              ;   Parent Loop BB3_17 Depth=1
                                        ;     Parent Loop BB3_26 Depth=2
                                        ;       Parent Loop BB3_73 Depth=3
                                        ; =>      This Loop Header: Depth=4
                                        ;           Child Loop BB3_154 Depth 5
                                        ;           Child Loop BB3_156 Depth 5
	v_mov_b32_e32 v2, 0
	s_mov_b64 s[20:21], s[40:41]
	s_mov_b32 s22, s25
	s_mov_b32 s34, s75
.LBB3_154:                              ;   Parent Loop BB3_17 Depth=1
                                        ;     Parent Loop BB3_26 Depth=2
                                        ;       Parent Loop BB3_73 Depth=3
                                        ;         Parent Loop BB3_153 Depth=4
                                        ; =>        This Inner Loop Header: Depth=5
	s_ashr_i32 s23, s22, 31
	s_lshl_b64 s[48:49], s[22:23], 3
	s_add_u32 s48, s46, s48
	s_addc_u32 s49, s47, s49
	global_load_dword v15, v3, s[20:21]
	global_load_dword v20, v3, s[48:49]
	s_add_i32 s34, s34, -1
	s_add_i32 s22, s22, 1
	s_add_u32 s20, s20, 4
	s_addc_u32 s21, s21, 0
	s_cmp_lg_u32 s34, 0
	s_waitcnt vmcnt(0)
	v_fmac_f32_e32 v2, v15, v20
	s_cbranch_scc1 .LBB3_154
; %bb.155:                              ;   in Loop: Header=BB3_153 Depth=4
	s_mov_b32 s22, 0
	s_mov_b64 s[20:21], s[40:41]
.LBB3_156:                              ;   Parent Loop BB3_17 Depth=1
                                        ;     Parent Loop BB3_26 Depth=2
                                        ;       Parent Loop BB3_73 Depth=3
                                        ;         Parent Loop BB3_153 Depth=4
                                        ; =>        This Inner Loop Header: Depth=5
	s_add_i32 s34, s25, s22
	s_ashr_i32 s35, s34, 31
	s_lshl_b64 s[34:35], s[34:35], 3
	s_add_u32 s34, s46, s34
	s_addc_u32 s35, s47, s35
	global_load_dword v15, v3, s[20:21]
	global_load_dword v20, v3, s[34:35]
	s_add_i32 s22, s22, 1
	s_waitcnt vmcnt(0)
	v_fma_f32 v15, -v2, v20, v15
	global_store_dword v3, v15, s[20:21]
	s_add_u32 s20, s20, 4
	s_addc_u32 s21, s21, 0
	s_cmp_lg_u32 s75, s22
	s_cbranch_scc1 .LBB3_156
; %bb.157:                              ;   in Loop: Header=BB3_153 Depth=4
	s_add_i32 s30, s30, 1
	s_add_i32 s25, s25, s51
	s_cmp_lt_i32 s30, s94
	s_cbranch_scc1 .LBB3_153
.LBB3_158:                              ;   in Loop: Header=BB3_73 Depth=3
	s_or_b64 exec, exec, s[0:1]
	s_mov_b32 s77, s24
	s_barrier
.LBB3_159:                              ;   in Loop: Header=BB3_73 Depth=3
	v_mov_b32_e32 v2, 0
	v_bfrev_b32_e32 v15, -2
	s_and_saveexec_b64 s[20:21], s[12:13]
	s_cbranch_execz .LBB3_163
; %bb.160:                              ;   in Loop: Header=BB3_73 Depth=3
	v_mov_b32_e32 v2, 0
	v_bfrev_b32_e32 v15, -2
	s_mov_b64 s[22:23], 0
	v_mov_b64_e32 v[20:21], v[8:9]
	v_mov_b32_e32 v22, v0
.LBB3_161:                              ;   Parent Loop BB3_17 Depth=1
                                        ;     Parent Loop BB3_26 Depth=2
                                        ;       Parent Loop BB3_73 Depth=3
                                        ; =>      This Inner Loop Header: Depth=4
	global_load_dword v23, v[20:21], off
	v_cmp_eq_u32_e32 vcc, s45, v15
	v_add_u32_e32 v24, 1, v22
	v_add_u32_e32 v22, 0x100, v22
	v_cmp_le_u32_e64 s[0:1], s75, v22
	v_lshl_add_u64 v[20:21], v[20:21], 0, s[72:73]
	s_waitcnt vmcnt(0)
	v_cmp_lt_f32_e64 s[24:25], v2, |v23|
	s_or_b64 vcc, s[24:25], vcc
	v_cndmask_b32_e64 v2, v2, |v23|, vcc
	s_or_b64 s[22:23], s[0:1], s[22:23]
	v_cndmask_b32_e32 v15, v15, v24, vcc
	s_andn2_b64 exec, exec, s[22:23]
	s_cbranch_execnz .LBB3_161
; %bb.162:                              ;   in Loop: Header=BB3_73 Depth=3
	s_or_b64 exec, exec, s[22:23]
.LBB3_163:                              ;   in Loop: Header=BB3_73 Depth=3
	s_or_b64 exec, exec, s[20:21]
	ds_write2st64_b32 v29, v2, v15 offset1:8
	s_waitcnt lgkmcnt(0)
	s_barrier
	s_and_saveexec_b64 s[20:21], s[2:3]
	s_cbranch_execz .LBB3_169
; %bb.164:                              ;   in Loop: Header=BB3_73 Depth=3
	ds_read2st64_b32 v[20:21], v29 offset0:2 offset1:10
	s_waitcnt lgkmcnt(0)
	v_cmp_lt_f32_e64 s[22:23], v2, v20
	v_cmp_nlt_f32_e32 vcc, v2, v20
	s_and_saveexec_b64 s[24:25], vcc
; %bb.165:                              ;   in Loop: Header=BB3_73 Depth=3
	v_cmp_eq_f32_e32 vcc, v2, v20
	v_cmp_gt_i32_e64 s[0:1], v15, v21
	s_and_b64 s[0:1], vcc, s[0:1]
	s_andn2_b64 s[22:23], s[22:23], exec
	s_and_b64 s[0:1], s[0:1], exec
	s_or_b64 s[22:23], s[22:23], s[0:1]
; %bb.166:                              ;   in Loop: Header=BB3_73 Depth=3
	s_or_b64 exec, exec, s[24:25]
	s_and_saveexec_b64 s[0:1], s[22:23]
; %bb.167:                              ;   in Loop: Header=BB3_73 Depth=3
	v_mov_b32_e32 v15, v21
	v_mov_b32_e32 v2, v20
	ds_write2st64_b32 v29, v20, v21 offset1:8
; %bb.168:                              ;   in Loop: Header=BB3_73 Depth=3
	s_or_b64 exec, exec, s[0:1]
.LBB3_169:                              ;   in Loop: Header=BB3_73 Depth=3
	s_or_b64 exec, exec, s[20:21]
	s_waitcnt lgkmcnt(0)
	s_barrier
	s_and_saveexec_b64 s[24:25], s[4:5]
	s_cbranch_execz .LBB3_196
; %bb.170:                              ;   in Loop: Header=BB3_73 Depth=3
	ds_read2st64_b32 v[20:21], v29 offset0:1 offset1:9
	s_waitcnt lgkmcnt(0)
	v_cmp_lt_f32_e64 s[20:21], v2, v20
	v_cmp_nlt_f32_e32 vcc, v2, v20
	s_and_saveexec_b64 s[22:23], vcc
; %bb.171:                              ;   in Loop: Header=BB3_73 Depth=3
	v_cmp_eq_f32_e32 vcc, v2, v20
	v_cmp_gt_i32_e64 s[0:1], v15, v21
	s_and_b64 s[0:1], vcc, s[0:1]
	s_andn2_b64 s[20:21], s[20:21], exec
	s_and_b64 s[0:1], s[0:1], exec
	s_or_b64 s[20:21], s[20:21], s[0:1]
; %bb.172:                              ;   in Loop: Header=BB3_73 Depth=3
	s_or_b64 exec, exec, s[22:23]
	s_and_saveexec_b64 s[0:1], s[20:21]
; %bb.173:                              ;   in Loop: Header=BB3_73 Depth=3
	v_mov_b32_e32 v2, v20
	v_mov_b32_e32 v15, v21
	ds_write2st64_b32 v29, v20, v21 offset1:8
; %bb.174:                              ;   in Loop: Header=BB3_73 Depth=3
	s_or_b64 exec, exec, s[0:1]
	v_add_u32_e32 v20, 0x80, v29
	ds_read2st64_b32 v[20:21], v20 offset1:8
	s_waitcnt lgkmcnt(0)
	v_cmp_lt_f32_e64 s[20:21], v2, v20
	v_cmp_nlt_f32_e32 vcc, v2, v20
	s_and_saveexec_b64 s[22:23], vcc
; %bb.175:                              ;   in Loop: Header=BB3_73 Depth=3
	v_cmp_eq_f32_e32 vcc, v2, v20
	v_cmp_gt_i32_e64 s[0:1], v15, v21
	s_and_b64 s[0:1], vcc, s[0:1]
	s_andn2_b64 s[20:21], s[20:21], exec
	s_and_b64 s[0:1], s[0:1], exec
	s_or_b64 s[20:21], s[20:21], s[0:1]
; %bb.176:                              ;   in Loop: Header=BB3_73 Depth=3
	s_or_b64 exec, exec, s[22:23]
	s_and_saveexec_b64 s[0:1], s[20:21]
; %bb.177:                              ;   in Loop: Header=BB3_73 Depth=3
	v_mov_b32_e32 v2, v20
	v_mov_b32_e32 v15, v21
	ds_write2st64_b32 v29, v20, v21 offset1:8
; %bb.178:                              ;   in Loop: Header=BB3_73 Depth=3
	s_or_b64 exec, exec, s[0:1]
	v_add_u32_e32 v20, 64, v29
	ds_read2st64_b32 v[20:21], v20 offset1:8
	;; [unrolled: 22-line block ×6, first 2 shown]
	s_waitcnt lgkmcnt(0)
	v_cmp_eq_f32_e64 s[0:1], v2, v20
	v_cmp_gt_i32_e64 s[20:21], v15, v21
	v_cmp_lt_f32_e32 vcc, v2, v20
	s_and_b64 s[0:1], s[0:1], s[20:21]
	s_or_b64 s[0:1], vcc, s[0:1]
	s_and_b64 exec, exec, s[0:1]
; %bb.195:                              ;   in Loop: Header=BB3_73 Depth=3
	ds_write2st64_b32 v29, v20, v21 offset1:8
.LBB3_196:                              ;   in Loop: Header=BB3_73 Depth=3
	s_or_b64 exec, exec, s[24:25]
	s_waitcnt lgkmcnt(0)
	s_barrier
	ds_read_b32 v2, v34
	s_add_i32 s20, s90, 1
	s_waitcnt lgkmcnt(0)
	v_cmp_ge_f32_e32 vcc, v2, v38
	s_nop 1
	v_cndmask_b32_e64 v2, 0, 1, vcc
	s_nop 0
	v_readfirstlane_b32 s0, v2
	s_add_i32 s95, s95, s0
	s_cmp_lt_u32 s90, 4
	s_cselect_b64 s[22:23], -1, 0
	s_cmp_lt_u32 s95, 2
	s_cselect_b64 s[0:1], -1, 0
	s_and_b64 s[22:23], s[22:23], s[0:1]
	s_and_b64 vcc, exec, s[22:23]
	s_cbranch_vccz .LBB3_198
; %bb.197:                              ;   in Loop: Header=BB3_73 Depth=3
	s_mov_b32 s90, s20
	v_mov_b32_e32 v2, 0
	v_bfrev_b32_e32 v15, -2
	s_and_saveexec_b64 s[20:21], s[12:13]
	s_cbranch_execnz .LBB3_70
	s_branch .LBB3_73
.LBB3_198:                              ;   in Loop: Header=BB3_26 Depth=2
	s_and_b64 s[20:21], s[62:63], s[0:1]
	s_and_saveexec_b64 s[0:1], s[20:21]
	s_cbranch_execz .LBB3_200
; %bb.199:                              ;   in Loop: Header=BB3_26 Depth=2
	ds_read_b32 v20, v3
	s_add_i32 s20, s94, 1
	v_mov_b32_e32 v15, s20
	v_readlane_b32 s20, v48, 10
	v_readlane_b32 s21, v48, 11
	s_waitcnt lgkmcnt(0)
	v_ashrrev_i32_e32 v21, 31, v20
	v_add_u32_e32 v2, 1, v20
	v_lshlrev_b64 v[20:21], 2, v[20:21]
	v_lshl_add_u64 v[20:21], s[20:21], 0, v[20:21]
	global_store_dword v[20:21], v15, off
	ds_write_b32 v3, v2
.LBB3_200:                              ;   in Loop: Header=BB3_26 Depth=2
	s_or_b64 exec, exec, s[0:1]
	v_mov_b32_e32 v2, 0
	v_bfrev_b32_e32 v15, -2
	s_and_saveexec_b64 s[20:21], s[12:13]
	s_cbranch_execz .LBB3_204
; %bb.201:                              ;   in Loop: Header=BB3_26 Depth=2
	v_mov_b32_e32 v2, 0
	v_bfrev_b32_e32 v15, -2
	s_mov_b64 s[22:23], 0
	v_mov_b64_e32 v[20:21], v[8:9]
	v_mov_b32_e32 v22, v0
.LBB3_202:                              ;   Parent Loop BB3_17 Depth=1
                                        ;     Parent Loop BB3_26 Depth=2
                                        ; =>    This Inner Loop Header: Depth=3
	global_load_dword v23, v[20:21], off
	v_cmp_eq_u32_e32 vcc, s45, v15
	v_add_u32_e32 v24, 1, v22
	v_add_u32_e32 v22, 0x100, v22
	v_cmp_le_u32_e64 s[0:1], s75, v22
	v_lshl_add_u64 v[20:21], v[20:21], 0, s[72:73]
	s_waitcnt vmcnt(0)
	v_cmp_lt_f32_e64 s[24:25], v2, |v23|
	s_or_b64 vcc, s[24:25], vcc
	v_cndmask_b32_e64 v2, v2, |v23|, vcc
	s_or_b64 s[22:23], s[0:1], s[22:23]
	v_cndmask_b32_e32 v15, v15, v24, vcc
	s_andn2_b64 exec, exec, s[22:23]
	s_cbranch_execnz .LBB3_202
; %bb.203:                              ;   in Loop: Header=BB3_26 Depth=2
	s_or_b64 exec, exec, s[22:23]
.LBB3_204:                              ;   in Loop: Header=BB3_26 Depth=2
	s_or_b64 exec, exec, s[20:21]
	ds_write2st64_b32 v29, v2, v15 offset1:8
	s_waitcnt lgkmcnt(0)
	s_barrier
	s_and_saveexec_b64 s[20:21], s[2:3]
	s_cbranch_execz .LBB3_210
; %bb.205:                              ;   in Loop: Header=BB3_26 Depth=2
	ds_read2st64_b32 v[20:21], v29 offset0:2 offset1:10
	s_waitcnt lgkmcnt(0)
	v_cmp_lt_f32_e64 s[22:23], v2, v20
	v_cmp_nlt_f32_e32 vcc, v2, v20
	s_and_saveexec_b64 s[24:25], vcc
; %bb.206:                              ;   in Loop: Header=BB3_26 Depth=2
	v_cmp_eq_f32_e32 vcc, v2, v20
	v_cmp_gt_i32_e64 s[0:1], v15, v21
	s_and_b64 s[0:1], vcc, s[0:1]
	s_andn2_b64 s[22:23], s[22:23], exec
	s_and_b64 s[0:1], s[0:1], exec
	s_or_b64 s[22:23], s[22:23], s[0:1]
; %bb.207:                              ;   in Loop: Header=BB3_26 Depth=2
	s_or_b64 exec, exec, s[24:25]
	s_and_saveexec_b64 s[0:1], s[22:23]
; %bb.208:                              ;   in Loop: Header=BB3_26 Depth=2
	v_mov_b32_e32 v15, v21
	v_mov_b32_e32 v2, v20
	ds_write2st64_b32 v29, v20, v21 offset1:8
; %bb.209:                              ;   in Loop: Header=BB3_26 Depth=2
	s_or_b64 exec, exec, s[0:1]
.LBB3_210:                              ;   in Loop: Header=BB3_26 Depth=2
	s_or_b64 exec, exec, s[20:21]
	s_waitcnt lgkmcnt(0)
	s_barrier
	s_and_saveexec_b64 s[24:25], s[4:5]
	s_cbranch_execz .LBB3_237
; %bb.211:                              ;   in Loop: Header=BB3_26 Depth=2
	ds_read2st64_b32 v[20:21], v29 offset0:1 offset1:9
	s_waitcnt lgkmcnt(0)
	v_cmp_lt_f32_e64 s[20:21], v2, v20
	v_cmp_nlt_f32_e32 vcc, v2, v20
	s_and_saveexec_b64 s[22:23], vcc
; %bb.212:                              ;   in Loop: Header=BB3_26 Depth=2
	v_cmp_eq_f32_e32 vcc, v2, v20
	v_cmp_gt_i32_e64 s[0:1], v15, v21
	s_and_b64 s[0:1], vcc, s[0:1]
	s_andn2_b64 s[20:21], s[20:21], exec
	s_and_b64 s[0:1], s[0:1], exec
	s_or_b64 s[20:21], s[20:21], s[0:1]
; %bb.213:                              ;   in Loop: Header=BB3_26 Depth=2
	s_or_b64 exec, exec, s[22:23]
	s_and_saveexec_b64 s[0:1], s[20:21]
; %bb.214:                              ;   in Loop: Header=BB3_26 Depth=2
	v_mov_b32_e32 v2, v20
	v_mov_b32_e32 v15, v21
	ds_write2st64_b32 v29, v20, v21 offset1:8
; %bb.215:                              ;   in Loop: Header=BB3_26 Depth=2
	s_or_b64 exec, exec, s[0:1]
	v_add_u32_e32 v20, 0x80, v29
	ds_read2st64_b32 v[20:21], v20 offset1:8
	s_waitcnt lgkmcnt(0)
	v_cmp_lt_f32_e64 s[20:21], v2, v20
	v_cmp_nlt_f32_e32 vcc, v2, v20
	s_and_saveexec_b64 s[22:23], vcc
; %bb.216:                              ;   in Loop: Header=BB3_26 Depth=2
	v_cmp_eq_f32_e32 vcc, v2, v20
	v_cmp_gt_i32_e64 s[0:1], v15, v21
	s_and_b64 s[0:1], vcc, s[0:1]
	s_andn2_b64 s[20:21], s[20:21], exec
	s_and_b64 s[0:1], s[0:1], exec
	s_or_b64 s[20:21], s[20:21], s[0:1]
; %bb.217:                              ;   in Loop: Header=BB3_26 Depth=2
	s_or_b64 exec, exec, s[22:23]
	s_and_saveexec_b64 s[0:1], s[20:21]
; %bb.218:                              ;   in Loop: Header=BB3_26 Depth=2
	v_mov_b32_e32 v2, v20
	v_mov_b32_e32 v15, v21
	ds_write2st64_b32 v29, v20, v21 offset1:8
; %bb.219:                              ;   in Loop: Header=BB3_26 Depth=2
	s_or_b64 exec, exec, s[0:1]
	v_add_u32_e32 v20, 64, v29
	ds_read2st64_b32 v[20:21], v20 offset1:8
	;; [unrolled: 22-line block ×6, first 2 shown]
	s_waitcnt lgkmcnt(0)
	v_cmp_eq_f32_e64 s[0:1], v2, v20
	v_cmp_gt_i32_e64 s[20:21], v15, v21
	v_cmp_lt_f32_e32 vcc, v2, v20
	s_and_b64 s[0:1], s[0:1], s[20:21]
	s_or_b64 s[0:1], vcc, s[0:1]
	s_and_b64 exec, exec, s[0:1]
; %bb.236:                              ;   in Loop: Header=BB3_26 Depth=2
	ds_write2st64_b32 v29, v20, v21 offset1:8
.LBB3_237:                              ;   in Loop: Header=BB3_26 Depth=2
	s_or_b64 exec, exec, s[24:25]
	v_mov_b32_e32 v2, 0
	s_and_saveexec_b64 s[0:1], s[12:13]
	s_cbranch_execz .LBB3_241
; %bb.238:                              ;   in Loop: Header=BB3_26 Depth=2
	v_mov_b32_e32 v2, 0
	s_mov_b64 s[20:21], 0
	v_mov_b64_e32 v[20:21], v[8:9]
	v_mov_b32_e32 v15, v0
.LBB3_239:                              ;   Parent Loop BB3_17 Depth=1
                                        ;     Parent Loop BB3_26 Depth=2
                                        ; =>    This Inner Loop Header: Depth=3
	global_load_dword v22, v[20:21], off
	v_add_u32_e32 v15, 0x100, v15
	v_cmp_le_u32_e32 vcc, s75, v15
	v_lshl_add_u64 v[20:21], v[20:21], 0, s[72:73]
	s_or_b64 s[20:21], vcc, s[20:21]
	s_waitcnt vmcnt(0)
	v_fmac_f32_e32 v2, v22, v22
	s_andn2_b64 exec, exec, s[20:21]
	s_cbranch_execnz .LBB3_239
; %bb.240:                              ;   in Loop: Header=BB3_26 Depth=2
	s_or_b64 exec, exec, s[20:21]
.LBB3_241:                              ;   in Loop: Header=BB3_26 Depth=2
	s_or_b64 exec, exec, s[0:1]
	ds_write_b32 v29, v2 offset:1024
	s_waitcnt lgkmcnt(0)
	s_barrier
	s_and_saveexec_b64 s[0:1], s[2:3]
	s_cbranch_execz .LBB3_243
; %bb.242:                              ;   in Loop: Header=BB3_26 Depth=2
	ds_read_b32 v15, v29 offset:1536
	s_waitcnt lgkmcnt(0)
	v_add_f32_e32 v2, v2, v15
.LBB3_243:                              ;   in Loop: Header=BB3_26 Depth=2
	s_or_b64 exec, exec, s[0:1]
	s_barrier
	s_and_saveexec_b64 s[0:1], s[2:3]
; %bb.244:                              ;   in Loop: Header=BB3_26 Depth=2
	ds_write_b32 v29, v2 offset:1024
; %bb.245:                              ;   in Loop: Header=BB3_26 Depth=2
	s_or_b64 exec, exec, s[0:1]
	s_waitcnt lgkmcnt(0)
	s_barrier
	s_and_saveexec_b64 s[0:1], s[4:5]
	s_cbranch_execz .LBB3_247
; %bb.246:                              ;   in Loop: Header=BB3_26 Depth=2
	ds_read2st64_b32 v[20:21], v29 offset0:4 offset1:5
	v_add_u32_e32 v2, 0x400, v29
	s_waitcnt lgkmcnt(0)
	v_add_f32_e32 v15, v20, v21
	ds_write_b32 v29, v15 offset:1024
	buffer_wbl2 sc1
	s_waitcnt vmcnt(0) lgkmcnt(0)
	buffer_inv sc1
	ds_read2_b32 v[20:21], v2 offset1:32
	s_waitcnt lgkmcnt(0)
	v_add_f32_e32 v15, v20, v21
	ds_write_b32 v29, v15 offset:1024
	buffer_wbl2 sc1
	s_waitcnt lgkmcnt(0)
	buffer_inv sc1
	ds_read2_b32 v[20:21], v2 offset1:16
	s_waitcnt lgkmcnt(0)
	v_add_f32_e32 v15, v20, v21
	ds_write_b32 v29, v15 offset:1024
	buffer_wbl2 sc1
	s_waitcnt lgkmcnt(0)
	;; [unrolled: 7-line block ×6, first 2 shown]
	buffer_inv sc1
.LBB3_247:                              ;   in Loop: Header=BB3_26 Depth=2
	s_or_b64 exec, exec, s[0:1]
	s_and_saveexec_b64 s[20:21], s[18:19]
	s_cbranch_execz .LBB3_249
; %bb.248:                              ;   in Loop: Header=BB3_26 Depth=2
	ds_read_b32 v2, v34 offset:1024
	s_mov_b32 s0, 0xf800000
	s_waitcnt lgkmcnt(0)
	v_mul_f32_e32 v15, 0x4f800000, v2
	v_cmp_gt_f32_e32 vcc, s0, v2
	s_nop 1
	v_cndmask_b32_e32 v2, v2, v15, vcc
	v_sqrt_f32_e32 v15, v2
	s_nop 0
	v_add_u32_e32 v20, -1, v15
	v_add_u32_e32 v21, 1, v15
	v_fma_f32 v22, -v20, v15, v2
	v_fma_f32 v23, -v21, v15, v2
	v_cmp_ge_f32_e64 s[0:1], 0, v22
	s_nop 1
	v_cndmask_b32_e64 v15, v15, v20, s[0:1]
	v_cmp_lt_f32_e64 s[0:1], 0, v23
	s_nop 1
	v_cndmask_b32_e64 v15, v15, v21, s[0:1]
	v_mul_f32_e32 v20, 0x37800000, v15
	v_cndmask_b32_e32 v15, v15, v20, vcc
	v_cmp_class_f32_e32 vcc, v2, v31
	s_nop 1
	v_cndmask_b32_e32 v2, v15, v2, vcc
	ds_write_b32 v34, v2 offset:1024
.LBB3_249:                              ;   in Loop: Header=BB3_26 Depth=2
	s_or_b64 exec, exec, s[20:21]
	s_waitcnt lgkmcnt(0)
	s_barrier
	ds_read2st64_b32 v[20:21], v34 offset0:4 offset1:8
	s_waitcnt lgkmcnt(0)
	v_ashrrev_i32_e32 v23, 31, v21
	v_mov_b32_e32 v22, v21
	v_lshlrev_b64 v[22:23], 2, v[22:23]
	v_lshl_add_u64 v[22:23], s[40:41], 0, v[22:23]
	global_load_dword v2, v[22:23], off offset:-4
	s_barrier
	s_and_saveexec_b64 s[0:1], s[8:9]
	s_cbranch_execz .LBB3_259
; %bb.250:                              ;   in Loop: Header=BB3_26 Depth=2
	s_waitcnt vmcnt(0)
	v_cmp_nle_f32_e32 vcc, 0, v2
	s_mov_b64 s[22:23], -1
	s_nop 0
	v_cndmask_b32_e64 v2, 1.0, -1.0, vcc
	v_div_scale_f32 v15, s[20:21], v20, v20, v2
	v_rcp_f32_e32 v21, v15
	v_div_scale_f32 v22, vcc, v2, v20, v2
	v_fma_f32 v23, -v15, v21, 1.0
	v_fmac_f32_e32 v21, v23, v21
	v_mul_f32_e32 v23, v22, v21
	v_fma_f32 v24, -v15, v23, v22
	v_fmac_f32_e32 v23, v24, v21
	v_fma_f32 v15, -v15, v23, v22
	v_div_fmas_f32 v15, v15, v21, v23
	v_div_fixup_f32 v20, v15, v20, v2
	v_mov_b32_e32 v2, v0
	v_mov_b64_e32 v[22:23], v[6:7]
	s_and_saveexec_b64 s[20:21], s[14:15]
	s_cbranch_execz .LBB3_256
; %bb.251:                              ;   in Loop: Header=BB3_26 Depth=2
	v_mov_b32_e32 v21, v20
	s_mov_b64 s[22:23], 0
	v_mov_b32_e32 v15, v40
	v_mov_b64_e32 v[22:23], v[0:1]
.LBB3_252:                              ;   Parent Loop BB3_17 Depth=1
                                        ;     Parent Loop BB3_26 Depth=2
                                        ; =>    This Inner Loop Header: Depth=3
	v_mov_b32_e32 v2, v22
	v_lshl_add_u64 v[24:25], v[2:3], 2, s[40:41]
	v_mov_b32_e32 v2, v23
	v_lshl_add_u64 v[26:27], v[2:3], 2, s[40:41]
	global_load_dword v42, v[24:25], off
	global_load_dword v43, v[26:27], off
	v_add_u32_e32 v15, -2, v15
	v_cmp_eq_u32_e32 vcc, 0, v15
	v_add_u32_e32 v22, 0x200, v22
	v_add_u32_e32 v23, 0x200, v23
	s_or_b64 s[22:23], vcc, s[22:23]
	s_waitcnt vmcnt(0)
	v_pk_mul_f32 v[42:43], v[20:21], v[42:43]
	global_store_dword v[24:25], v42, off
	global_store_dword v[26:27], v43, off
	s_andn2_b64 exec, exec, s[22:23]
	s_cbranch_execnz .LBB3_252
; %bb.253:                              ;   in Loop: Header=BB3_26 Depth=2
	s_or_b64 exec, exec, s[22:23]
	s_mov_b64 s[22:23], 0
                                        ; implicit-def: $vgpr22_vgpr23
	s_and_saveexec_b64 s[24:25], s[16:17]
; %bb.254:                              ;   in Loop: Header=BB3_26 Depth=2
	v_mov_b32_e32 v15, v3
	s_mov_b64 s[22:23], exec
	v_lshlrev_b64 v[22:23], 2, v[14:15]
; %bb.255:                              ;   in Loop: Header=BB3_26 Depth=2
	s_or_b64 exec, exec, s[24:25]
	s_orn2_b64 s[22:23], s[22:23], exec
	v_mov_b32_e32 v2, v14
.LBB3_256:                              ;   in Loop: Header=BB3_26 Depth=2
	s_or_b64 exec, exec, s[20:21]
	s_and_b64 exec, exec, s[22:23]
	s_cbranch_execz .LBB3_259
; %bb.257:                              ;   in Loop: Header=BB3_26 Depth=2
	v_lshl_add_u64 v[22:23], s[40:41], 0, v[22:23]
	s_mov_b64 s[20:21], 0
.LBB3_258:                              ;   Parent Loop BB3_17 Depth=1
                                        ;     Parent Loop BB3_26 Depth=2
                                        ; =>    This Inner Loop Header: Depth=3
	global_load_dword v15, v[22:23], off
	v_add_u32_e32 v2, 0x100, v2
	v_cmp_lt_i32_e32 vcc, s80, v2
	s_or_b64 s[20:21], vcc, s[20:21]
	s_waitcnt vmcnt(0)
	v_mul_f32_e32 v15, v20, v15
	global_store_dword v[22:23], v15, off
	v_lshl_add_u64 v[22:23], v[22:23], 0, s[72:73]
	s_andn2_b64 exec, exec, s[20:21]
	s_cbranch_execnz .LBB3_258
.LBB3_259:                              ;   in Loop: Header=BB3_26 Depth=2
	s_or_b64 exec, exec, s[0:1]
	s_barrier
	s_and_saveexec_b64 s[20:21], s[6:7]
	s_cbranch_execz .LBB3_264
.LBB3_260:                              ;   in Loop: Header=BB3_26 Depth=2
	s_mov_b64 s[22:23], 0
	v_mov_b32_e32 v15, v0
	s_branch .LBB3_262
.LBB3_261:                              ;   in Loop: Header=BB3_262 Depth=3
	s_or_b64 exec, exec, s[0:1]
	v_add_u32_e32 v20, s85, v15
	v_add_u32_e32 v15, 0x100, v15
	v_ashrrev_i32_e32 v21, 31, v20
	v_cmp_le_i32_e32 vcc, s44, v15
	v_lshl_add_u64 v[20:21], v[20:21], 3, s[46:47]
	s_or_b64 s[22:23], vcc, s[22:23]
	s_waitcnt vmcnt(0)
	global_store_dwordx2 v[20:21], v[2:3], off
	s_andn2_b64 exec, exec, s[22:23]
	s_cbranch_execz .LBB3_264
.LBB3_262:                              ;   Parent Loop BB3_17 Depth=1
                                        ;     Parent Loop BB3_26 Depth=2
                                        ; =>    This Inner Loop Header: Depth=3
	v_cmp_le_i32_e32 vcc, s76, v15
	v_cmp_gt_i32_e64 s[0:1], s78, v15
	s_and_b64 s[24:25], vcc, s[0:1]
	s_waitcnt vmcnt(0)
	v_mov_b32_e32 v2, 0
	s_and_saveexec_b64 s[0:1], s[24:25]
	s_cbranch_execz .LBB3_261
; %bb.263:                              ;   in Loop: Header=BB3_262 Depth=3
	v_add_u32_e32 v2, s81, v15
	v_lshl_add_u64 v[20:21], v[2:3], 2, s[40:41]
	global_load_dword v2, v[20:21], off
	s_branch .LBB3_261
.LBB3_264:                              ;   in Loop: Header=BB3_26 Depth=2
	s_or_b64 exec, exec, s[20:21]
	s_add_i32 s84, s84, 1
	s_add_i32 s94, s94, 1
	;; [unrolled: 1-line block ×3, first 2 shown]
	s_cmp_ge_i32 s94, s26
	s_barrier
	s_cselect_b64 s[0:1], -1, 0
	s_mov_b32 s20, s39
	s_and_b64 vcc, exec, s[0:1]
	s_cbranch_vccnz .LBB3_15
.LBB3_265:                              ;   in Loop: Header=BB3_26 Depth=2
	s_waitcnt vmcnt(0)
	v_mov_b32_e32 v2, v35
	s_branch .LBB3_26
.LBB3_266:
	s_and_saveexec_b64 s[0:1], s[18:19]
	s_cbranch_execz .LBB3_268
; %bb.267:
	v_mov_b32_e32 v0, 0
	ds_read_b32 v1, v0
	v_readlane_b32 s4, v48, 2
	v_readlane_b32 s6, v48, 4
	;; [unrolled: 1-line block ×6, first 2 shown]
	s_mov_b64 s[6:7], s[10:11]
	v_readlane_b32 s1, v48, 1
	s_add_u32 s0, s6, s0
	s_addc_u32 s1, s7, s1
	v_readlane_b32 s5, v48, 3
	v_readlane_b32 s8, v48, 6
	;; [unrolled: 1-line block ×3, first 2 shown]
	s_waitcnt lgkmcnt(0)
	global_store_dword v0, v1, s[0:1]
.LBB3_268:
	s_endpgm
	.section	.rodata,"a",@progbits
	.p2align	6, 0x0
	.amdhsa_kernel _ZN9rocsolver6v33100L12stein_kernelI19rocblas_complex_numIfEfPS3_EEviPT0_lS6_lPiS6_lS7_lS7_lT1_iilS7_lS7_S6_S7_S5_S5_
		.amdhsa_group_segment_fixed_size 8
		.amdhsa_private_segment_fixed_size 0
		.amdhsa_kernarg_size 168
		.amdhsa_user_sgpr_count 2
		.amdhsa_user_sgpr_dispatch_ptr 0
		.amdhsa_user_sgpr_queue_ptr 0
		.amdhsa_user_sgpr_kernarg_segment_ptr 1
		.amdhsa_user_sgpr_dispatch_id 0
		.amdhsa_user_sgpr_kernarg_preload_length 0
		.amdhsa_user_sgpr_kernarg_preload_offset 0
		.amdhsa_user_sgpr_private_segment_size 0
		.amdhsa_uses_dynamic_stack 0
		.amdhsa_enable_private_segment 0
		.amdhsa_system_sgpr_workgroup_id_x 1
		.amdhsa_system_sgpr_workgroup_id_y 1
		.amdhsa_system_sgpr_workgroup_id_z 0
		.amdhsa_system_sgpr_workgroup_info 0
		.amdhsa_system_vgpr_workitem_id 0
		.amdhsa_next_free_vgpr 49
		.amdhsa_next_free_sgpr 100
		.amdhsa_accum_offset 52
		.amdhsa_reserve_vcc 1
		.amdhsa_float_round_mode_32 0
		.amdhsa_float_round_mode_16_64 0
		.amdhsa_float_denorm_mode_32 3
		.amdhsa_float_denorm_mode_16_64 3
		.amdhsa_dx10_clamp 1
		.amdhsa_ieee_mode 1
		.amdhsa_fp16_overflow 0
		.amdhsa_tg_split 0
		.amdhsa_exception_fp_ieee_invalid_op 0
		.amdhsa_exception_fp_denorm_src 0
		.amdhsa_exception_fp_ieee_div_zero 0
		.amdhsa_exception_fp_ieee_overflow 0
		.amdhsa_exception_fp_ieee_underflow 0
		.amdhsa_exception_fp_ieee_inexact 0
		.amdhsa_exception_int_div_zero 0
	.end_amdhsa_kernel
	.section	.text._ZN9rocsolver6v33100L12stein_kernelI19rocblas_complex_numIfEfPS3_EEviPT0_lS6_lPiS6_lS7_lS7_lT1_iilS7_lS7_S6_S7_S5_S5_,"axG",@progbits,_ZN9rocsolver6v33100L12stein_kernelI19rocblas_complex_numIfEfPS3_EEviPT0_lS6_lPiS6_lS7_lS7_lT1_iilS7_lS7_S6_S7_S5_S5_,comdat
.Lfunc_end3:
	.size	_ZN9rocsolver6v33100L12stein_kernelI19rocblas_complex_numIfEfPS3_EEviPT0_lS6_lPiS6_lS7_lS7_lT1_iilS7_lS7_S6_S7_S5_S5_, .Lfunc_end3-_ZN9rocsolver6v33100L12stein_kernelI19rocblas_complex_numIfEfPS3_EEviPT0_lS6_lPiS6_lS7_lS7_lT1_iilS7_lS7_S6_S7_S5_S5_
                                        ; -- End function
	.set _ZN9rocsolver6v33100L12stein_kernelI19rocblas_complex_numIfEfPS3_EEviPT0_lS6_lPiS6_lS7_lS7_lT1_iilS7_lS7_S6_S7_S5_S5_.num_vgpr, 49
	.set _ZN9rocsolver6v33100L12stein_kernelI19rocblas_complex_numIfEfPS3_EEviPT0_lS6_lPiS6_lS7_lS7_lT1_iilS7_lS7_S6_S7_S5_S5_.num_agpr, 0
	.set _ZN9rocsolver6v33100L12stein_kernelI19rocblas_complex_numIfEfPS3_EEviPT0_lS6_lPiS6_lS7_lS7_lT1_iilS7_lS7_S6_S7_S5_S5_.numbered_sgpr, 100
	.set _ZN9rocsolver6v33100L12stein_kernelI19rocblas_complex_numIfEfPS3_EEviPT0_lS6_lPiS6_lS7_lS7_lT1_iilS7_lS7_S6_S7_S5_S5_.num_named_barrier, 0
	.set _ZN9rocsolver6v33100L12stein_kernelI19rocblas_complex_numIfEfPS3_EEviPT0_lS6_lPiS6_lS7_lS7_lT1_iilS7_lS7_S6_S7_S5_S5_.private_seg_size, 0
	.set _ZN9rocsolver6v33100L12stein_kernelI19rocblas_complex_numIfEfPS3_EEviPT0_lS6_lPiS6_lS7_lS7_lT1_iilS7_lS7_S6_S7_S5_S5_.uses_vcc, 1
	.set _ZN9rocsolver6v33100L12stein_kernelI19rocblas_complex_numIfEfPS3_EEviPT0_lS6_lPiS6_lS7_lS7_lT1_iilS7_lS7_S6_S7_S5_S5_.uses_flat_scratch, 0
	.set _ZN9rocsolver6v33100L12stein_kernelI19rocblas_complex_numIfEfPS3_EEviPT0_lS6_lPiS6_lS7_lS7_lT1_iilS7_lS7_S6_S7_S5_S5_.has_dyn_sized_stack, 0
	.set _ZN9rocsolver6v33100L12stein_kernelI19rocblas_complex_numIfEfPS3_EEviPT0_lS6_lPiS6_lS7_lS7_lT1_iilS7_lS7_S6_S7_S5_S5_.has_recursion, 0
	.set _ZN9rocsolver6v33100L12stein_kernelI19rocblas_complex_numIfEfPS3_EEviPT0_lS6_lPiS6_lS7_lS7_lT1_iilS7_lS7_S6_S7_S5_S5_.has_indirect_call, 0
	.section	.AMDGPU.csdata,"",@progbits
; Kernel info:
; codeLenInByte = 9896
; TotalNumSgprs: 106
; NumVgprs: 49
; NumAgprs: 0
; TotalNumVgprs: 49
; ScratchSize: 0
; MemoryBound: 0
; FloatMode: 240
; IeeeMode: 1
; LDSByteSize: 8 bytes/workgroup (compile time only)
; SGPRBlocks: 13
; VGPRBlocks: 6
; NumSGPRsForWavesPerEU: 106
; NumVGPRsForWavesPerEU: 49
; AccumOffset: 52
; Occupancy: 7
; WaveLimiterHint : 1
; COMPUTE_PGM_RSRC2:SCRATCH_EN: 0
; COMPUTE_PGM_RSRC2:USER_SGPR: 2
; COMPUTE_PGM_RSRC2:TRAP_HANDLER: 0
; COMPUTE_PGM_RSRC2:TGID_X_EN: 1
; COMPUTE_PGM_RSRC2:TGID_Y_EN: 1
; COMPUTE_PGM_RSRC2:TGID_Z_EN: 0
; COMPUTE_PGM_RSRC2:TIDIG_COMP_CNT: 0
; COMPUTE_PGM_RSRC3_GFX90A:ACCUM_OFFSET: 12
; COMPUTE_PGM_RSRC3_GFX90A:TG_SPLIT: 0
	.section	.text._ZN9rocsolver6v33100L12stein_kernelI19rocblas_complex_numIdEdPS3_EEviPT0_lS6_lPiS6_lS7_lS7_lT1_iilS7_lS7_S6_S7_S5_S5_,"axG",@progbits,_ZN9rocsolver6v33100L12stein_kernelI19rocblas_complex_numIdEdPS3_EEviPT0_lS6_lPiS6_lS7_lS7_lT1_iilS7_lS7_S6_S7_S5_S5_,comdat
	.globl	_ZN9rocsolver6v33100L12stein_kernelI19rocblas_complex_numIdEdPS3_EEviPT0_lS6_lPiS6_lS7_lS7_lT1_iilS7_lS7_S6_S7_S5_S5_ ; -- Begin function _ZN9rocsolver6v33100L12stein_kernelI19rocblas_complex_numIdEdPS3_EEviPT0_lS6_lPiS6_lS7_lS7_lT1_iilS7_lS7_S6_S7_S5_S5_
	.p2align	8
	.type	_ZN9rocsolver6v33100L12stein_kernelI19rocblas_complex_numIdEdPS3_EEviPT0_lS6_lPiS6_lS7_lS7_lT1_iilS7_lS7_S6_S7_S5_S5_,@function
_ZN9rocsolver6v33100L12stein_kernelI19rocblas_complex_numIdEdPS3_EEviPT0_lS6_lPiS6_lS7_lS7_lT1_iilS7_lS7_S6_S7_S5_S5_: ; @_ZN9rocsolver6v33100L12stein_kernelI19rocblas_complex_numIdEdPS3_EEviPT0_lS6_lPiS6_lS7_lS7_lT1_iilS7_lS7_S6_S7_S5_S5_
; %bb.0:
	s_load_dwordx16 s[8:23], s[0:1], 0x8
	s_mov_b32 s4, s3
	s_ashr_i32 s5, s3, 31
	s_lshl_b64 s[6:7], s[4:5], 2
	s_waitcnt lgkmcnt(0)
	s_add_u32 s2, s16, s6
	s_addc_u32 s3, s17, s7
	s_load_dword s58, s[2:3], 0x0
	s_waitcnt lgkmcnt(0)
	s_cmp_lt_i32 s58, 1
	s_cbranch_scc1 .LBB4_248
; %bb.1:
	s_load_dwordx16 s[36:51], s[0:1], 0x70
                                        ; implicit-def: $vgpr64 : SGPR spill to VGPR lane
	s_mov_b64 s[72:73], 0
	v_writelane_b32 v64, s6, 0
	s_waitcnt lgkmcnt(0)
	s_cmp_eq_u64 s[38:39], 0
	v_writelane_b32 v64, s7, 1
	s_cbranch_scc1 .LBB4_3
; %bb.2:
	s_mul_i32 s2, s40, s5
	s_mul_hi_u32 s3, s40, s4
	s_add_i32 s2, s3, s2
	s_mul_i32 s3, s41, s4
	s_add_i32 s3, s2, s3
	s_mul_i32 s2, s40, s4
	s_lshl_b64 s[2:3], s[2:3], 2
	s_add_u32 s72, s38, s2
	s_addc_u32 s73, s39, s3
.LBB4_3:
	v_cmp_eq_u32_e64 s[16:17], 0, v0
	s_and_saveexec_b64 s[2:3], s[16:17]
; %bb.4:
	v_mov_b32_e32 v1, 0
	ds_write_b32 v1, v1
; %bb.5:
	s_or_b64 exec, exec, s[2:3]
	s_cmp_lg_u64 s[72:73], 0
	s_cselect_b64 s[2:3], -1, 0
	v_cmp_gt_u32_e32 vcc, s58, v0
	s_and_b64 s[24:25], vcc, s[2:3]
	s_and_saveexec_b64 s[6:7], s[24:25]
	s_cbranch_execz .LBB4_13
; %bb.6:
	v_xad_u32 v1, v0, -1, s58
	s_movk_i32 s24, 0xff
	v_cmp_lt_u32_e32 vcc, s24, v1
	s_mov_b64 s[26:27], -1
	v_mov_b32_e32 v2, v0
	s_and_saveexec_b64 s[24:25], vcc
	s_cbranch_execz .LBB4_10
; %bb.7:
	v_lshrrev_b32_e32 v1, 8, v1
	v_add_u32_e32 v6, 1, v1
	v_and_b32_e32 v7, 0x1fffffe, v6
	v_or_b32_e32 v1, 0x100, v0
	s_mov_b64 s[26:27], 0
	v_mov_b32_e32 v3, 0
	v_mov_b32_e32 v8, v7
	v_mov_b64_e32 v[4:5], v[0:1]
.LBB4_8:                                ; =>This Inner Loop Header: Depth=1
	v_mov_b32_e32 v2, v4
	v_add_u32_e32 v8, -2, v8
	v_lshl_add_u64 v[10:11], v[2:3], 2, s[72:73]
	v_mov_b32_e32 v2, v5
	v_cmp_eq_u32_e32 vcc, 0, v8
	v_add_u32_e32 v4, 0x200, v4
	v_add_u32_e32 v5, 0x200, v5
	v_lshl_add_u64 v[12:13], v[2:3], 2, s[72:73]
	s_or_b64 s[26:27], vcc, s[26:27]
	global_store_dword v[10:11], v3, off
	global_store_dword v[12:13], v3, off
	s_andn2_b64 exec, exec, s[26:27]
	s_cbranch_execnz .LBB4_8
; %bb.9:
	s_or_b64 exec, exec, s[26:27]
	v_cmp_ne_u32_e32 vcc, v6, v7
	v_lshl_or_b32 v2, v7, 8, v0
	s_orn2_b64 s[26:27], vcc, exec
.LBB4_10:
	s_or_b64 exec, exec, s[24:25]
	s_and_b64 exec, exec, s[26:27]
	s_cbranch_execz .LBB4_13
; %bb.11:
	v_mov_b32_e32 v3, 0
	v_lshl_add_u64 v[4:5], v[2:3], 2, s[72:73]
	s_mov_b64 s[24:25], 0
	s_mov_b64 s[26:27], 0x400
.LBB4_12:                               ; =>This Inner Loop Header: Depth=1
	v_add_u32_e32 v2, 0x100, v2
	v_cmp_le_i32_e32 vcc, s58, v2
	global_store_dword v[4:5], v3, off
	s_or_b64 s[24:25], vcc, s[24:25]
	v_lshl_add_u64 v[4:5], v[4:5], 0, s[26:27]
	s_andn2_b64 exec, exec, s[24:25]
	s_cbranch_execnz .LBB4_12
.LBB4_13:
	s_or_b64 exec, exec, s[6:7]
	s_load_dwordx8 s[24:31], s[0:1], 0x48
	s_mov_b32 s39, 0
	s_mov_b32 s59, s39
	v_mov_b32_e32 v4, 0
	s_waitcnt lgkmcnt(0)
	s_mul_i32 s7, s24, s5
	s_mul_hi_u32 s33, s24, s4
	s_mul_i32 s25, s25, s4
	s_add_i32 s7, s33, s7
	s_mul_i32 s6, s24, s4
	s_add_i32 s7, s7, s25
	s_lshl_b64 s[6:7], s[6:7], 2
	s_add_u32 s33, s22, s6
	s_addc_u32 s56, s23, s7
	s_lshl_b64 s[6:7], s[58:59], 2
	s_add_u32 s6, s33, s6
	s_addc_u32 s7, s56, s7
	v_writelane_b32 v64, s6, 2
	s_nop 1
	v_writelane_b32 v64, s7, 3
	s_nop 1
	global_load_dword v5, v4, s[6:7] offset:-4
	s_waitcnt vmcnt(0)
	v_cmp_gt_i32_e32 vcc, 1, v5
	s_cbranch_vccnz .LBB4_246
; %bb.14:
	s_load_dword s24, s[0:1], 0x0
	s_load_dwordx2 s[40:41], s[0:1], 0x68
	s_mul_i32 s6, s10, s5
	s_mul_hi_u32 s7, s10, s4
	s_add_i32 s0, s7, s6
	s_mul_i32 s1, s11, s4
	s_add_i32 s1, s0, s1
	s_mul_i32 s0, s10, s4
	s_waitcnt lgkmcnt(0)
	s_ashr_i32 s25, s24, 31
	s_lshl_b64 s[0:1], s[0:1], 3
	s_add_u32 s34, s8, s0
	s_addc_u32 s35, s9, s1
	s_mul_i32 s0, s14, s5
	s_mul_hi_u32 s1, s14, s4
	s_add_i32 s0, s1, s0
	s_mul_i32 s1, s15, s4
	s_add_i32 s1, s0, s1
	s_mul_i32 s0, s14, s4
	s_lshl_b64 s[0:1], s[0:1], 3
	s_add_u32 s54, s12, s0
	s_addc_u32 s55, s13, s1
	s_mul_i32 s0, s20, s5
	s_mul_hi_u32 s1, s20, s4
	s_add_i32 s0, s1, s0
	s_mul_i32 s1, s21, s4
	s_add_i32 s1, s0, s1
	s_mul_i32 s0, s20, s4
	;; [unrolled: 9-line block ×3, first 2 shown]
	s_lshl_b64 s[0:1], s[0:1], 2
	s_add_u32 s23, s26, s0
	s_mul_i32 s22, s24, 5
	s_addc_u32 s0, s27, s1
	v_writelane_b32 v64, s0, 4
	s_mul_hi_i32 s1, s22, s4
	s_mul_i32 s0, s22, s4
	s_lshl_b64 s[6:7], s[0:1], 3
	s_add_u32 s20, s44, s6
	s_mul_hi_i32 s9, s24, s4
	s_mul_i32 s8, s24, s4
	s_addc_u32 s21, s45, s7
	s_lshl_b64 s[8:9], s[8:9], 2
	s_add_u32 s66, s46, s8
	s_mul_i32 s5, s36, s5
	s_mul_hi_u32 s10, s36, s4
	s_addc_u32 s67, s47, s9
	s_add_i32 s5, s10, s5
	s_mul_i32 s10, s37, s4
	s_add_i32 s5, s5, s10
	s_mul_i32 s4, s36, s4
	s_ashr_i32 s9, s40, 31
	s_lshl_b64 s[4:5], s[4:5], 4
	s_mov_b32 s8, s40
	s_add_u32 s10, s30, s4
	s_addc_u32 s11, s31, s5
	s_lshl_b64 s[4:5], s[8:9], 4
	s_add_u32 s28, s10, s4
	s_mul_i32 s14, s24, 3
	s_addc_u32 s29, s11, s5
	s_ashr_i32 s15, s14, 31
	s_lshl_b64 s[4:5], s[14:15], 3
	s_add_u32 s36, s20, s4
	s_addc_u32 s37, s21, s5
	s_lshl_b64 s[8:9], s[24:25], 4
	s_sub_u32 s40, 0, s8
	s_subb_u32 s64, 0, s9
	s_add_u32 s46, s36, s40
	s_addc_u32 s47, s37, s64
	s_lshl_b64 s[10:11], s[24:25], 3
	s_add_u32 s60, s46, s10
	s_addc_u32 s61, s47, s11
	s_add_u32 s62, s60, s8
	s_addc_u32 s63, s61, s9
	s_and_b64 s[2:3], s[16:17], s[2:3]
	v_writelane_b32 v64, s2, 5
	v_div_scale_f64 v[8:9], s[12:13], s[50:51], s[50:51], 1.0
	s_nop 0
	v_writelane_b32 v64, s3, 6
	s_add_u32 s2, s54, 8
	v_writelane_b32 v64, s2, 7
	s_addc_u32 s2, s55, 0
	v_writelane_b32 v64, s2, 8
	s_add_u32 s2, s34, 8
	v_writelane_b32 v64, s2, 9
	s_addc_u32 s2, s35, 0
	s_add_u32 s6, s6, s4
	s_addc_u32 s7, s7, s5
	v_writelane_b32 v64, s2, 10
	s_add_u32 s2, s44, s6
	s_addc_u32 s3, s45, s7
	s_lshl_b32 s65, s24, 1
	s_sub_u32 s4, s6, s8
	s_subb_u32 s5, s7, s9
	v_writelane_b32 v64, s4, 11
	s_add_u32 s0, s0, s14
	s_addc_u32 s1, s1, s15
	v_writelane_b32 v64, s5, 12
	s_mov_b32 s4, s14
	v_writelane_b32 v64, s4, 13
	v_rcp_f64_e32 v[10:11], v[8:9]
	v_max_f64 v[2:3], s[48:49], s[48:49]
	v_writelane_b32 v64, s5, 14
	s_add_u32 s4, s0, s24
	s_addc_u32 s5, s1, s25
	s_lshl_b64 s[4:5], s[4:5], 3
	s_lshl_b64 s[0:1], s[0:1], 3
	v_writelane_b32 v64, s4, 15
	s_sub_u32 s0, s0, s10
	s_subb_u32 s1, s1, s11
	v_writelane_b32 v64, s5, 16
	v_writelane_b32 v64, s0, 17
	v_fma_f64 v[12:13], -v[8:9], v[10:11], 1.0
	v_fmac_f64_e32 v[10:11], v[10:11], v[12:13]
	v_writelane_b32 v64, s1, 18
	s_add_u32 s0, s6, 8
	s_addc_u32 s1, s7, 0
	v_fma_f64 v[12:13], -v[8:9], v[10:11], 1.0
	v_writelane_b32 v64, s0, 19
	v_fmac_f64_e32 v[10:11], v[10:11], v[12:13]
	v_div_scale_f64 v[12:13], vcc, 1.0, s[50:51], 1.0
	v_writelane_b32 v64, s1, 20
	v_mul_f64 v[14:15], v[12:13], v[10:11]
	v_writelane_b32 v64, s34, 21
	v_max_f64 v[6:7], v[2:3], 0
	v_lshlrev_b32_e32 v2, 3, v0
	v_fma_f64 v[8:9], -v[8:9], v[14:15], v[12:13]
	v_mov_b32_e32 v3, v4
	v_writelane_b32 v64, s35, 22
	v_add_u32_e32 v1, 8, v2
	v_div_fmas_f64 v[8:9], v[8:9], v[10:11], v[14:15]
	v_lshl_add_u64 v[10:11], s[20:21], 0, v[2:3]
	v_lshl_add_u64 v[12:13], s[2:3], 0, v[2:3]
	v_add_u32_e32 v2, s24, v0
	s_add_u32 s74, s2, 16
	v_writelane_b32 v64, s54, 23
	v_ashrrev_i32_e32 v3, 31, v2
	s_addc_u32 s75, s3, 0
	v_writelane_b32 v64, s55, 24
	v_lshlrev_b32_e32 v48, 2, v0
	s_movk_i32 s12, 0x80
	v_lshl_add_u64 v[2:3], v[2:3], 3, s[20:21]
	s_add_u32 s76, s20, 8
	s_mov_b32 s82, 0xff800000
	v_writelane_b32 v64, s23, 25
	v_sub_u32_e32 v49, v1, v48
	v_div_fixup_f64 v[8:9], v[8:9], s[50:51], 1.0
	v_lshl_add_u64 v[14:15], v[2:3], 0, 8
	s_addc_u32 s77, s21, 0
	v_mov_b32_e32 v50, 0x260
	s_mov_b32 s83, 0x41dfffff
	v_mov_b32_e32 v51, 1
	v_mov_b32_e32 v17, 0x3ff00000
	;; [unrolled: 1-line block ×6, first 2 shown]
	v_cmp_gt_u32_e64 s[2:3], s12, v0
	s_brev_b32 s25, -2
	s_mov_b32 s88, 0
	v_cmp_gt_u32_e64 s[4:5], 64, v0
	v_cmp_gt_i32_e64 s[98:99], s24, v0
	s_mov_b64 s[86:87], 0x800
	s_mov_b32 s90, s39
	v_writelane_b32 v64, s58, 26
                                        ; implicit-def: $vgpr32_vgpr33
                                        ; implicit-def: $vgpr24_vgpr25
                                        ; implicit-def: $vgpr22_vgpr23
                                        ; implicit-def: $vgpr20_vgpr21
                                        ; implicit-def: $sgpr89
	s_nop 1
	v_writelane_b32 v64, s59, 27
	s_branch .LBB4_17
.LBB4_15:                               ;   in Loop: Header=BB4_17 Depth=1
	v_readlane_b32 s0, v64, 2
	v_readlane_b32 s1, v64, 3
	;; [unrolled: 1-line block ×4, first 2 shown]
	s_mov_b32 s88, s11
	v_readlane_b32 s35, v64, 22
	v_readlane_b32 s55, v64, 24
	global_load_dword v5, v4, s[0:1] offset:-4
	v_readlane_b32 s23, v64, 25
.LBB4_16:                               ;   in Loop: Header=BB4_17 Depth=1
	s_add_i32 s90, s90, 1
	s_waitcnt vmcnt(0)
	v_cmp_ge_i32_e32 vcc, s90, v5
	s_cbranch_vccnz .LBB4_246
.LBB4_17:                               ; =>This Loop Header: Depth=1
                                        ;     Child Loop BB4_22 Depth 2
                                        ;     Child Loop BB4_27 Depth 2
                                        ;       Child Loop BB4_37 Depth 3
                                        ;       Child Loop BB4_40 Depth 3
                                        ;       Child Loop BB4_46 Depth 3
                                        ;       Child Loop BB4_72 Depth 3
                                        ;       Child Loop BB4_74 Depth 3
                                        ;         Child Loop BB4_109 Depth 4
                                        ;         Child Loop BB4_112 Depth 4
	;; [unrolled: 1-line block ×4, first 2 shown]
                                        ;           Child Loop BB4_128 Depth 5
                                        ;         Child Loop BB4_142 Depth 4
                                        ;           Child Loop BB4_143 Depth 5
                                        ;           Child Loop BB4_145 Depth 5
                                        ;         Child Loop BB4_150 Depth 4
                                        ;       Child Loop BB4_191 Depth 3
                                        ;       Child Loop BB4_228 Depth 3
	;; [unrolled: 1-line block ×4, first 2 shown]
	s_mov_b32 s92, 0
	s_cmp_eq_u32 s90, 0
	s_mov_b64 s[0:1], 0
	v_readlane_b32 s6, v64, 4
	s_cbranch_scc1 .LBB4_19
; %bb.18:                               ;   in Loop: Header=BB4_17 Depth=1
	s_mov_b32 s91, s39
	s_lshl_b64 s[0:1], s[90:91], 2
	s_add_u32 s0, s23, s0
	s_addc_u32 s1, s6, s1
	global_load_dword v2, v4, s[0:1] offset:-4
	s_mov_b64 s[0:1], s[90:91]
	s_waitcnt vmcnt(0)
	v_readfirstlane_b32 s92, v2
.LBB4_19:                               ;   in Loop: Header=BB4_17 Depth=1
	s_lshl_b64 s[0:1], s[0:1], 2
	s_add_u32 s0, s23, s0
	s_addc_u32 s1, s6, s1
	global_load_dword v2, v4, s[0:1]
	s_not_b32 s0, s92
	s_waitcnt vmcnt(0)
	v_readfirstlane_b32 s94, v2
	s_add_i32 s96, s0, s94
	s_cmp_lt_i32 s96, 1
	s_cselect_b64 s[52:53], -1, 0
	v_subrev_u32_e32 v53, s92, v2
	s_and_b64 vcc, exec, s[52:53]
	s_cbranch_vccnz .LBB4_24
; %bb.20:                               ;   in Loop: Header=BB4_17 Depth=1
	s_ashr_i32 s93, s92, 31
	s_lshl_b64 s[8:9], s[92:93], 3
	s_add_u32 s0, s34, s8
	s_addc_u32 s1, s35, s9
	s_add_u32 s12, s54, s8
	s_addc_u32 s13, s55, s9
	s_ashr_i32 s95, s94, 31
	s_lshl_b64 s[14:15], s[94:95], 3
	s_add_u32 s18, s34, s14
	s_addc_u32 s19, s35, s15
	s_add_i32 s10, s94, -2
	s_add_u32 s14, s54, s14
	s_addc_u32 s15, s55, s15
	global_load_dwordx2 v[20:21], v4, s[0:1]
	global_load_dwordx2 v[2:3], v4, s[12:13]
	global_load_dwordx2 v[22:23], v4, s[18:19] offset:-8
	global_load_dwordx2 v[24:25], v4, s[14:15] offset:-16
	s_cmp_ge_i32 s92, s10
	s_waitcnt vmcnt(2)
	v_add_f64 v[20:21], |v[20:21]|, |v[2:3]|
	s_waitcnt vmcnt(0)
	v_add_f64 v[22:23], |v[22:23]|, |v[24:25]|
	v_cmp_lt_f64_e32 vcc, v[20:21], v[22:23]
	s_nop 1
	v_cndmask_b32_e32 v21, v21, v23, vcc
	v_cndmask_b32_e32 v20, v20, v22, vcc
	s_cbranch_scc1 .LBB4_23
; %bb.21:                               ;   in Loop: Header=BB4_17 Depth=1
	v_readlane_b32 s0, v64, 7
	s_add_u32 s0, s0, s8
	v_readlane_b32 s1, v64, 8
	s_addc_u32 s1, s1, s9
	v_readlane_b32 s6, v64, 9
	s_add_u32 s8, s6, s8
	v_readlane_b32 s6, v64, 10
	s_addc_u32 s9, s6, s9
	s_mov_b32 s11, s92
.LBB4_22:                               ;   Parent Loop BB4_17 Depth=1
                                        ; =>  This Inner Loop Header: Depth=2
	global_load_dwordx2 v[22:23], v4, s[8:9]
	s_add_i32 s11, s11, 1
	s_waitcnt vmcnt(0)
	v_add_f64 v[22:23], |v[2:3]|, |v[22:23]|
	global_load_dwordx2 v[2:3], v4, s[0:1]
	s_add_u32 s0, s0, 8
	s_addc_u32 s1, s1, 0
	s_add_u32 s8, s8, 8
	s_addc_u32 s9, s9, 0
	s_cmp_lt_i32 s11, s10
	s_waitcnt vmcnt(0)
	v_add_f64 v[22:23], v[22:23], |v[2:3]|
	v_cmp_lt_f64_e32 vcc, v[20:21], v[22:23]
	s_nop 1
	v_cndmask_b32_e32 v21, v21, v23, vcc
	v_cndmask_b32_e32 v20, v20, v22, vcc
	s_cbranch_scc1 .LBB4_22
.LBB4_23:                               ;   in Loop: Header=BB4_17 Depth=1
	s_mov_b32 s6, 0x9999999a
	v_cvt_f64_u32_e32 v[2:3], v53
	s_mov_b32 s7, 0x3fb99999
	v_div_scale_f64 v[22:23], s[0:1], v[2:3], v[2:3], s[6:7]
	v_rcp_f64_e32 v[24:25], v[22:23]
	v_div_scale_f64 v[26:27], vcc, s[6:7], v[2:3], s[6:7]
	s_mov_b32 s0, 0
	v_fma_f64 v[28:29], -v[22:23], v[24:25], 1.0
	v_fmac_f64_e32 v[24:25], v[24:25], v[28:29]
	v_fma_f64 v[28:29], -v[22:23], v[24:25], 1.0
	v_fmac_f64_e32 v[24:25], v[24:25], v[28:29]
	v_mul_f64 v[28:29], v[26:27], v[24:25]
	v_fma_f64 v[22:23], -v[22:23], v[28:29], v[26:27]
	v_div_fmas_f64 v[22:23], v[22:23], v[24:25], v[28:29]
	v_div_fixup_f64 v[2:3], v[22:23], v[2:3], s[6:7]
	s_brev_b32 s1, 8
	v_cmp_gt_f64_e32 vcc, s[0:1], v[2:3]
	s_and_b64 s[0:1], vcc, exec
	s_cselect_b32 s0, 0x100, 0
	v_ldexp_f64 v[2:3], v[2:3], s0
	v_rsq_f64_e32 v[24:25], v[2:3]
	s_mov_b32 s0, 0xd2f1a9fc
	s_mov_b32 s1, 0x3f50624d
	v_mul_f64 v[22:23], v[20:21], s[0:1]
	v_mul_f64 v[26:27], v[2:3], v[24:25]
	v_mul_f64 v[24:25], v[24:25], 0.5
	v_fma_f64 v[28:29], -v[24:25], v[26:27], 0.5
	v_fmac_f64_e32 v[26:27], v[26:27], v[28:29]
	v_fma_f64 v[30:31], -v[26:27], v[26:27], v[2:3]
	v_fmac_f64_e32 v[24:25], v[24:25], v[28:29]
	v_fmac_f64_e32 v[26:27], v[30:31], v[24:25]
	v_fma_f64 v[28:29], -v[26:27], v[26:27], v[2:3]
	v_fmac_f64_e32 v[26:27], v[28:29], v[24:25]
	s_cselect_b32 s0, 0xffffff80, 0
	v_ldexp_f64 v[24:25], v[26:27], s0
	v_cmp_class_f64_e32 vcc, v[2:3], v50
	s_mov_b32 s89, s88
	s_nop 0
	v_cndmask_b32_e32 v25, v25, v3, vcc
	v_cndmask_b32_e32 v24, v24, v2, vcc
.LBB4_24:                               ;   in Loop: Header=BB4_17 Depth=1
	s_cmp_ge_i32 s88, s58
	s_cbranch_scc1 .LBB4_16
; %bb.25:                               ;   in Loop: Header=BB4_17 Depth=1
	v_cmp_gt_i32_e64 s[0:1], s96, v0
	s_ashr_i32 s95, s94, 31
	s_mov_b32 s97, s39
	v_writelane_b32 v64, s0, 28
	v_cvt_f64_u32_e32 v[2:3], v53
	v_mul_f64 v[26:27], v[20:21], v[2:3]
	v_writelane_b32 v64, s1, 29
	s_lshl_b64 s[0:1], s[94:95], 3
	s_add_u32 s0, s34, s0
	s_addc_u32 s1, s35, s1
	v_writelane_b32 v64, s0, 30
	v_add_u32_e32 v2, s92, v0
	v_ashrrev_i32_e32 v3, 31, v2
	v_writelane_b32 v64, s1, 31
	v_lshlrev_b64 v[2:3], 3, v[2:3]
	v_readlane_b32 s0, v64, 13
	v_readlane_b32 s1, v64, 14
	s_add_i32 s0, s96, s0
	s_ashr_i32 s1, s0, 31
	s_lshl_b64 s[0:1], s[0:1], 3
	s_add_u32 s78, s20, s0
	s_addc_u32 s79, s21, s1
	s_lshl_b64 s[0:1], s[96:97], 2
	s_add_u32 s22, s66, s0
	s_addc_u32 s23, s67, s1
	s_add_i32 s91, s96, -1
	s_lshl_b64 s[0:1], s[96:97], 3
	s_add_u32 s0, s36, s0
	s_addc_u32 s1, s37, s1
	v_cmp_ge_i32_e64 s[8:9], s96, v0
	v_writelane_b32 v64, s0, 32
	v_cmp_lt_u32_e64 s[12:13], v0, v53
	v_cmp_lt_u32_e64 s[14:15], 2, v53
	v_lshl_add_u64 v[28:29], s[34:35], 0, v[2:3]
	v_lshl_add_u64 v[30:31], s[54:55], 0, v[2:3]
	s_sub_i32 s93, s94, s92
	s_mov_b32 s97, 0
	s_sub_i32 s95, 0, s92
	s_mul_i32 s10, s41, s88
	s_mov_b32 s80, s88
	v_writelane_b32 v64, s1, 33
	s_branch .LBB4_27
.LBB4_26:                               ;   in Loop: Header=BB4_27 Depth=2
	s_or_b64 exec, exec, s[18:19]
	s_add_i32 s97, s97, 1
	s_add_i32 s80, s80, 1
	;; [unrolled: 1-line block ×3, first 2 shown]
	s_cmp_ge_i32 s80, s58
	s_barrier
	s_cselect_b64 s[0:1], -1, 0
	s_mov_b32 s11, s88
	s_and_b64 vcc, exec, s[0:1]
	s_cbranch_vccnz .LBB4_15
.LBB4_27:                               ;   Parent Loop BB4_17 Depth=1
                                        ; =>  This Loop Header: Depth=2
                                        ;       Child Loop BB4_37 Depth 3
                                        ;       Child Loop BB4_40 Depth 3
	;; [unrolled: 1-line block ×5, first 2 shown]
                                        ;         Child Loop BB4_109 Depth 4
                                        ;         Child Loop BB4_112 Depth 4
	;; [unrolled: 1-line block ×4, first 2 shown]
                                        ;           Child Loop BB4_128 Depth 5
                                        ;         Child Loop BB4_142 Depth 4
                                        ;           Child Loop BB4_143 Depth 5
                                        ;           Child Loop BB4_145 Depth 5
                                        ;         Child Loop BB4_150 Depth 4
                                        ;       Child Loop BB4_191 Depth 3
                                        ;       Child Loop BB4_228 Depth 3
	;; [unrolled: 1-line block ×4, first 2 shown]
	s_ashr_i32 s81, s80, 31
	s_lshl_b64 s[0:1], s[80:81], 2
	s_add_u32 s0, s33, s0
	s_addc_u32 s1, s56, s1
	global_load_dword v2, v4, s[0:1]
	s_mov_b64 s[0:1], -1
	s_waitcnt vmcnt(0)
	v_add_u32_e32 v2, -1, v2
	v_cmp_ne_u32_e32 vcc, s90, v2
	s_cbranch_vccnz .LBB4_31
; %bb.28:                               ;   in Loop: Header=BB4_27 Depth=2
	s_lshl_b64 s[0:1], s[80:81], 3
	s_add_u32 s0, s71, s0
	s_addc_u32 s1, s57, s1
	global_load_dwordx2 v[2:3], v4, s[0:1]
	s_mov_b64 s[0:1], -1
	s_and_b64 vcc, exec, s[52:53]
	s_cbranch_vccnz .LBB4_32
; %bb.29:                               ;   in Loop: Header=BB4_27 Depth=2
	s_and_b64 vcc, exec, s[0:1]
	s_cbranch_vccnz .LBB4_35
.LBB4_30:                               ;   in Loop: Header=BB4_27 Depth=2
	s_waitcnt vmcnt(0)
	v_mov_b64_e32 v[32:33], v[2:3]
	s_and_saveexec_b64 s[18:19], s[98:99]
	s_cbranch_execz .LBB4_26
	s_branch .LBB4_242
.LBB4_31:                               ;   in Loop: Header=BB4_27 Depth=2
	s_mov_b32 s11, s80
                                        ; implicit-def: $sgpr97
                                        ; implicit-def: $sgpr10
	s_and_b64 vcc, exec, s[0:1]
	s_cbranch_vccz .LBB4_27
	s_branch .LBB4_15
.LBB4_32:                               ;   in Loop: Header=BB4_27 Depth=2
	s_and_saveexec_b64 s[0:1], s[16:17]
	s_cbranch_execz .LBB4_34
; %bb.33:                               ;   in Loop: Header=BB4_27 Depth=2
	global_store_dwordx2 v4, v[16:17], s[20:21]
.LBB4_34:                               ;   in Loop: Header=BB4_27 Depth=2
	s_or_b64 exec, exec, s[0:1]
	s_barrier
	s_branch .LBB4_30
.LBB4_35:                               ;   in Loop: Header=BB4_27 Depth=2
	s_and_saveexec_b64 s[0:1], s[8:9]
	s_cbranch_execz .LBB4_38
; %bb.36:                               ;   in Loop: Header=BB4_27 Depth=2
	s_mul_i32 s11, s90, s58
	s_add_i32 s11, s80, s11
	v_lshl_or_b32 v34, s11, 8, v0
	v_sub_u32_e32 v5, 0x7ffffffe, v34
	v_sub_u32_e32 v35, 0xf7, v34
	s_mov_b32 s11, 0x7fffff07
	v_max_u32_e32 v35, 1, v35
	v_cmp_gt_u32_e32 vcc, s11, v5
	s_mov_b32 s11, 0x7ffffffe
	s_mov_b64 s[18:19], 0
	v_cndmask_b32_e32 v5, v35, v5, vcc
	v_cmp_ne_u32_e32 vcc, s11, v34
	v_add_u32_e32 v34, 1, v34
	s_mov_b32 s11, 0x40000001
	v_mul_hi_i32 v35, v34, s11
	v_lshrrev_b32_e32 v36, 31, v35
	v_ashrrev_i32_e32 v35, 29, v35
	v_add_u32_e32 v35, v35, v36
	v_mul_lo_u32 v35, v35, s25
	v_sub_u32_e32 v34, v34, v35
	v_cndmask_b32_e32 v5, 1, v5, vcc
	v_max_i32_e32 v37, 1, v34
	v_mov_b64_e32 v[34:35], v[10:11]
	v_mov_b32_e32 v36, v0
.LBB4_37:                               ;   Parent Loop BB4_17 Depth=1
                                        ;     Parent Loop BB4_27 Depth=2
                                        ; =>    This Inner Loop Header: Depth=3
	s_mov_b32 s11, 0x5e4789c9
	s_mov_b32 s26, 0x4f7a09cd
	v_mul_hi_i32 v38, v37, s11
	v_mul_hi_i32 v39, v5, s26
	v_lshrrev_b32_e32 v40, 31, v38
	v_ashrrev_i32_e32 v38, 14, v38
	v_lshrrev_b32_e32 v41, 31, v39
	v_ashrrev_i32_e32 v39, 14, v39
	v_add_u32_e32 v38, v38, v40
	v_add_u32_e32 v39, v39, v41
	v_mul_i32_i24_e32 v40, 0xadc8, v38
	v_mul_i32_i24_e32 v41, 0xce26, v39
	s_mov_b32 s27, 0xbc8f
	s_mov_b32 s30, 0x9ef4
	v_sub_u32_e32 v37, v37, v40
	v_sub_u32_e32 v5, v5, v41
	s_movk_i32 s31, 0xf2b9
	s_movk_i32 s34, 0xf131
	v_mul_lo_u32 v37, v37, s27
	v_mul_lo_u32 v5, v5, s30
	v_mad_i32_i24 v37, v38, s31, v37
	v_mad_i32_i24 v5, v39, s34, v5
	v_ashrrev_i32_e32 v38, 31, v37
	v_ashrrev_i32_e32 v39, 31, v5
	v_and_b32_e32 v38, 0x7fffffff, v38
	v_and_b32_e32 v39, 0x7fffff07, v39
	v_add_u32_e32 v37, v38, v37
	v_add_u32_e32 v5, v39, v5
	v_sub_u32_e32 v38, v37, v5
	v_ashrrev_i32_e32 v39, 31, v38
	v_and_b32_e32 v39, 0x7fffffff, v39
	v_add_u32_e32 v38, v39, v38
	v_cvt_f64_i32_e32 v[38:39], v38
	v_div_scale_f64 v[40:41], s[26:27], s[82:83], s[82:83], v[38:39]
	v_rcp_f64_e32 v[42:43], v[40:41]
	v_add_u32_e32 v36, 0x100, v36
	v_cmp_lt_i32_e32 vcc, s96, v36
	s_or_b64 s[18:19], vcc, s[18:19]
	v_fma_f64 v[46:47], -v[40:41], v[42:43], 1.0
	v_fmac_f64_e32 v[42:43], v[42:43], v[46:47]
	v_fma_f64 v[46:47], -v[40:41], v[42:43], 1.0
	v_div_scale_f64 v[44:45], vcc, v[38:39], s[82:83], v[38:39]
	v_fmac_f64_e32 v[42:43], v[42:43], v[46:47]
	v_mul_f64 v[46:47], v[44:45], v[42:43]
	v_fma_f64 v[40:41], -v[40:41], v[46:47], v[44:45]
	s_nop 0
	v_div_fmas_f64 v[40:41], v[40:41], v[42:43], v[46:47]
	v_div_fixup_f64 v[38:39], v[40:41], s[82:83], v[38:39]
	global_store_dwordx2 v[34:35], v[38:39], off
	v_lshl_add_u64 v[34:35], v[34:35], 0, s[86:87]
	s_andn2_b64 exec, exec, s[18:19]
	s_cbranch_execnz .LBB4_37
.LBB4_38:                               ;   in Loop: Header=BB4_27 Depth=2
	s_or_b64 exec, exec, s[0:1]
	v_readlane_b32 s6, v64, 28
	v_readlane_b32 s7, v64, 29
	s_and_saveexec_b64 s[0:1], s[6:7]
	s_cbranch_execz .LBB4_41
; %bb.39:                               ;   in Loop: Header=BB4_27 Depth=2
	s_mov_b64 s[18:19], 0
	v_mov_b64_e32 v[34:35], v[30:31]
	v_mov_b64_e32 v[36:37], v[28:29]
	;; [unrolled: 1-line block ×4, first 2 shown]
	v_mov_b32_e32 v5, v0
.LBB4_40:                               ;   Parent Loop BB4_17 Depth=1
                                        ;     Parent Loop BB4_27 Depth=2
                                        ; =>    This Inner Loop Header: Depth=3
	global_load_dwordx2 v[42:43], v[36:37], off
	v_add_u32_e32 v44, s65, v5
	v_add_u32_e32 v5, 0x100, v5
	v_ashrrev_i32_e32 v45, 31, v44
	v_cmp_le_i32_e32 vcc, s96, v5
	v_lshl_add_u64 v[44:45], v[44:45], 3, s[20:21]
	v_lshl_add_u64 v[36:37], v[36:37], 0, s[86:87]
	s_or_b64 s[18:19], vcc, s[18:19]
	s_waitcnt vmcnt(0)
	global_store_dwordx2 v[40:41], v[42:43], off
	global_load_dwordx2 v[42:43], v[34:35], off
	v_lshl_add_u64 v[40:41], v[40:41], 0, s[86:87]
	v_lshl_add_u64 v[34:35], v[34:35], 0, s[86:87]
	s_waitcnt vmcnt(0)
	global_store_dwordx2 v[44:45], v[42:43], off
	global_store_dwordx2 v[38:39], v[42:43], off
	v_lshl_add_u64 v[38:39], v[38:39], 0, s[86:87]
	s_andn2_b64 exec, exec, s[18:19]
	s_cbranch_execnz .LBB4_40
.LBB4_41:                               ;   in Loop: Header=BB4_27 Depth=2
	s_or_b64 exec, exec, s[0:1]
	s_and_saveexec_b64 s[0:1], s[16:17]
	s_cbranch_execz .LBB4_43
; %bb.42:                               ;   in Loop: Header=BB4_27 Depth=2
	v_readlane_b32 s6, v64, 30
	v_readlane_b32 s7, v64, 31
	s_nop 4
	global_load_dwordx2 v[34:35], v4, s[6:7] offset:-8
	s_waitcnt vmcnt(0)
	global_store_dwordx2 v4, v[34:35], s[78:79]
.LBB4_43:                               ;   in Loop: Header=BB4_27 Depth=2
	s_or_b64 exec, exec, s[0:1]
	s_mov_b32 s0, 0
	s_waitcnt vmcnt(0)
	v_mul_f64 v[34:35], s[48:49], v[2:3]
	s_mov_b32 s1, 0x40240000
	s_cmp_lg_u32 s97, 0
	v_mul_f64 v[36:37], |v[34:35]|, s[0:1]
	v_add_f64 v[38:39], v[2:3], -v[32:33]
	s_cselect_b64 s[84:85], -1, 0
	v_fma_f64 v[34:35], |v[34:35]|, s[0:1], v[32:33]
	v_cmp_lt_f64_e32 vcc, v[38:39], v[36:37]
	s_cmp_eq_u32 s97, 0
	s_nop 0
	v_cndmask_b32_e32 v5, v2, v34, vcc
	v_cndmask_b32_e32 v34, v3, v35, vcc
	s_cselect_b64 vcc, -1, 0
	v_cndmask_b32_e32 v3, v34, v3, vcc
	v_cndmask_b32_e32 v2, v5, v2, vcc
	s_barrier
	s_and_saveexec_b64 s[0:1], s[16:17]
	s_cbranch_execz .LBB4_70
; %bb.44:                               ;   in Loop: Header=BB4_27 Depth=2
	global_load_dwordx2 v[34:35], v4, s[36:37]
	s_mov_b32 s38, s71
	s_mov_b64 s[6:7], s[72:73]
	v_readlane_b32 s18, v64, 19
	v_readlane_b32 s68, v64, 17
	;; [unrolled: 1-line block ×4, first 2 shown]
	s_mov_b32 s11, 1
	v_readlane_b32 s19, v64, 20
	v_readlane_b32 s69, v64, 18
	s_mov_b64 s[26:27], s[66:67]
	v_readlane_b32 s71, v64, 16
	v_readlane_b32 s73, v64, 12
	global_store_dword v4, v4, s[22:23]
	s_waitcnt vmcnt(1)
	v_add_f64 v[34:35], v[34:35], -v[2:3]
	global_store_dwordx2 v4, v[34:35], s[36:37]
	global_load_dwordx2 v[36:37], v4, s[46:47] offset:8
	s_waitcnt vmcnt(0)
	v_add_f64 v[34:35], |v[34:35]|, |v[36:37]|
	s_branch .LBB4_46
.LBB4_45:                               ;   in Loop: Header=BB4_46 Depth=3
	s_add_u32 s72, s72, 8
	s_addc_u32 s73, s73, 0
	s_add_u32 s70, s70, 8
	s_addc_u32 s71, s71, 0
	;; [unrolled: 2-line block ×4, first 2 shown]
	s_add_i32 s11, s11, 1
	s_add_u32 s18, s18, 8
	s_addc_u32 s19, s19, 0
	s_cmp_eq_u32 s93, s11
	s_cbranch_scc1 .LBB4_67
.LBB4_46:                               ;   Parent Loop BB4_17 Depth=1
                                        ;     Parent Loop BB4_27 Depth=2
                                        ; =>    This Inner Loop Header: Depth=3
	s_add_i32 s30, s11, -1
	s_add_u32 s34, s44, s18
	s_addc_u32 s35, s45, s19
	global_load_dwordx2 v[36:37], v4, s[34:35]
	s_add_u32 s58, s44, s68
	s_addc_u32 s59, s45, s69
	s_cmp_lt_u32 s30, s91
	s_cselect_b64 s[54:55], -1, 0
	s_cmp_ge_u32 s30, s91
	s_waitcnt vmcnt(0)
	v_add_f64 v[40:41], v[36:37], -v[2:3]
	global_store_dwordx2 v4, v[40:41], s[34:35]
	global_load_dwordx2 v[42:43], v4, s[58:59]
	s_waitcnt vmcnt(0)
	v_add_f64 v[36:37], |v[40:41]|, |v[42:43]|
	s_cbranch_scc1 .LBB4_48
; %bb.47:                               ;   in Loop: Header=BB4_46 Depth=3
	s_add_u32 s30, s44, s72
	s_addc_u32 s31, s45, s73
	global_load_dwordx2 v[38:39], v4, s[30:31] offset:16
	s_waitcnt vmcnt(0)
	v_add_f64 v[36:37], v[36:37], |v[38:39]|
.LBB4_48:                               ;   in Loop: Header=BB4_46 Depth=3
	global_load_dwordx2 v[44:45], v4, s[34:35] offset:-8
	s_waitcnt vmcnt(0)
	v_cmp_eq_f64_e32 vcc, 0, v[44:45]
	s_cbranch_vccnz .LBB4_59
; %bb.49:                               ;   in Loop: Header=BB4_46 Depth=3
	v_and_b32_e32 v39, 0x7fffffff, v45
	v_mov_b32_e32 v38, v44
	v_div_scale_f64 v[46:47], s[30:31], v[34:35], v[34:35], v[38:39]
	v_rcp_f64_e32 v[54:55], v[46:47]
	v_div_scale_f64 v[38:39], vcc, v[38:39], v[34:35], v[38:39]
	v_fma_f64 v[56:57], -v[46:47], v[54:55], 1.0
	v_fmac_f64_e32 v[54:55], v[54:55], v[56:57]
	v_fma_f64 v[56:57], -v[46:47], v[54:55], 1.0
	v_fmac_f64_e32 v[54:55], v[54:55], v[56:57]
	v_mul_f64 v[56:57], v[38:39], v[54:55]
	v_fma_f64 v[38:39], -v[46:47], v[56:57], v[38:39]
	v_div_fmas_f64 v[38:39], v[38:39], v[54:55], v[56:57]
	v_div_fixup_f64 v[38:39], v[38:39], v[34:35], |v[44:45]|
	v_cmp_neq_f64_e32 vcc, 0, v[42:43]
	s_cbranch_vccz .LBB4_60
.LBB4_50:                               ;   in Loop: Header=BB4_46 Depth=3
	v_and_b32_e32 v47, 0x7fffffff, v43
	v_mov_b32_e32 v46, v42
	v_div_scale_f64 v[54:55], s[30:31], v[36:37], v[36:37], v[46:47]
	v_rcp_f64_e32 v[56:57], v[54:55]
	v_div_scale_f64 v[46:47], vcc, v[46:47], v[36:37], v[46:47]
	s_mov_b64 s[30:31], -1
	v_fma_f64 v[58:59], -v[54:55], v[56:57], 1.0
	v_fmac_f64_e32 v[56:57], v[56:57], v[58:59]
	v_fma_f64 v[58:59], -v[54:55], v[56:57], 1.0
	v_fmac_f64_e32 v[56:57], v[56:57], v[58:59]
	v_mul_f64 v[58:59], v[46:47], v[56:57]
	v_fma_f64 v[46:47], -v[54:55], v[58:59], v[46:47]
	v_div_fmas_f64 v[46:47], v[46:47], v[56:57], v[58:59]
	v_div_fixup_f64 v[46:47], v[46:47], v[36:37], |v[42:43]|
	v_cmp_nle_f64_e32 vcc, v[46:47], v[38:39]
	s_cbranch_vccnz .LBB4_54
; %bb.51:                               ;   in Loop: Header=BB4_46 Depth=3
	v_div_scale_f64 v[54:55], s[30:31], v[44:45], v[44:45], v[42:43]
	v_rcp_f64_e32 v[56:57], v[54:55]
	v_div_scale_f64 v[58:59], vcc, v[42:43], v[44:45], v[42:43]
	s_add_u32 s30, s44, s72
	v_fma_f64 v[60:61], -v[54:55], v[56:57], 1.0
	v_fmac_f64_e32 v[56:57], v[56:57], v[60:61]
	v_fma_f64 v[60:61], -v[54:55], v[56:57], 1.0
	v_fmac_f64_e32 v[56:57], v[56:57], v[60:61]
	v_mul_f64 v[60:61], v[58:59], v[56:57]
	v_fma_f64 v[54:55], -v[54:55], v[60:61], v[58:59]
	v_div_fmas_f64 v[54:55], v[54:55], v[56:57], v[60:61]
	v_div_fixup_f64 v[54:55], v[54:55], v[44:45], v[42:43]
	global_store_dwordx2 v4, v[54:55], s[58:59]
	s_addc_u32 s31, s45, s73
	global_load_dwordx2 v[56:57], v4, s[34:35]
	global_load_dwordx2 v[58:59], v4, s[30:31] offset:8
	s_andn2_b64 vcc, exec, s[54:55]
	global_store_dword v4, v4, s[26:27]
	s_waitcnt vmcnt(1)
	v_fma_f64 v[54:55], -v[54:55], v[58:59], v[56:57]
	global_store_dwordx2 v4, v[54:55], s[34:35]
	s_cbranch_vccnz .LBB4_53
; %bb.52:                               ;   in Loop: Header=BB4_46 Depth=3
	s_add_u32 s30, s44, s70
	s_addc_u32 s31, s45, s71
	global_store_dwordx2 v4, v[18:19], s[30:31]
.LBB4_53:                               ;   in Loop: Header=BB4_46 Depth=3
	s_mov_b64 s[30:31], 0
.LBB4_54:                               ;   in Loop: Header=BB4_46 Depth=3
	s_andn2_b64 vcc, exec, s[30:31]
	v_mov_b64_e32 v[54:55], v[36:37]
	s_cbranch_vccnz .LBB4_58
; %bb.55:                               ;   in Loop: Header=BB4_46 Depth=3
	s_add_u32 s30, s44, s72
	global_store_dwordx2 v4, v[42:43], s[34:35] offset:-8
	s_addc_u32 s31, s45, s73
	global_load_dwordx2 v[54:55], v4, s[30:31] offset:8
	v_div_scale_f64 v[56:57], vcc, v[42:43], v[42:43], v[44:45]
	v_rcp_f64_e32 v[58:59], v[56:57]
	v_div_scale_f64 v[60:61], vcc, v[44:45], v[42:43], v[44:45]
	global_store_dword v4, v51, s[26:27]
	v_fma_f64 v[62:63], -v[56:57], v[58:59], 1.0
	v_fmac_f64_e32 v[58:59], v[58:59], v[62:63]
	v_fma_f64 v[62:63], -v[56:57], v[58:59], 1.0
	v_fmac_f64_e32 v[58:59], v[58:59], v[62:63]
	v_mul_f64 v[62:63], v[60:61], v[58:59]
	v_fma_f64 v[56:57], -v[56:57], v[62:63], v[60:61]
	v_div_fmas_f64 v[56:57], v[56:57], v[58:59], v[62:63]
	v_div_fixup_f64 v[42:43], v[56:57], v[42:43], v[44:45]
	s_andn2_b64 vcc, exec, s[54:55]
	s_waitcnt vmcnt(1)
	v_fma_f64 v[44:45], -v[40:41], v[42:43], v[54:55]
	global_store_dwordx2 v4, v[44:45], s[34:35]
	s_cbranch_vccnz .LBB4_57
; %bb.56:                               ;   in Loop: Header=BB4_46 Depth=3
	global_load_dwordx2 v[44:45], v4, s[30:31] offset:16
	s_add_u32 s34, s44, s70
	s_addc_u32 s35, s45, s71
	s_waitcnt vmcnt(0)
	global_store_dwordx2 v4, v[44:45], s[34:35]
	v_mul_f64 v[44:45], v[44:45], -v[42:43]
	global_store_dwordx2 v4, v[44:45], s[30:31] offset:16
.LBB4_57:                               ;   in Loop: Header=BB4_46 Depth=3
	v_mov_b64_e32 v[54:55], v[34:35]
	global_store_dwordx2 v4, v[40:41], s[30:31] offset:8
	global_store_dwordx2 v4, v[42:43], s[58:59]
.LBB4_58:                               ;   in Loop: Header=BB4_46 Depth=3
	v_mov_b64_e32 v[34:35], v[54:55]
	s_cbranch_execz .LBB4_61
	s_branch .LBB4_64
.LBB4_59:                               ;   in Loop: Header=BB4_46 Depth=3
	v_mov_b64_e32 v[38:39], 0
	v_cmp_neq_f64_e32 vcc, 0, v[42:43]
	s_cbranch_vccnz .LBB4_50
.LBB4_60:                               ;   in Loop: Header=BB4_46 Depth=3
                                        ; implicit-def: $vgpr46_vgpr47
                                        ; implicit-def: $vgpr34_vgpr35
.LBB4_61:                               ;   in Loop: Header=BB4_46 Depth=3
	s_andn2_b64 vcc, exec, s[54:55]
	global_store_dword v4, v4, s[26:27]
	s_cbranch_vccnz .LBB4_63
; %bb.62:                               ;   in Loop: Header=BB4_46 Depth=3
	s_add_u32 s30, s44, s70
	s_addc_u32 s31, s45, s71
	global_store_dwordx2 v4, v[18:19], s[30:31]
.LBB4_63:                               ;   in Loop: Header=BB4_46 Depth=3
	v_mov_b64_e32 v[46:47], 0
	v_mov_b64_e32 v[34:35], v[36:37]
.LBB4_64:                               ;   in Loop: Header=BB4_46 Depth=3
	v_max_f64 v[36:37], v[46:47], v[46:47]
	v_max_f64 v[38:39], v[38:39], v[38:39]
	v_max_f64 v[36:37], v[38:39], v[36:37]
	v_cmp_nle_f64_e32 vcc, v[36:37], v[6:7]
	s_cbranch_vccnz .LBB4_45
; %bb.65:                               ;   in Loop: Header=BB4_46 Depth=3
	global_load_dword v5, v4, s[22:23]
	s_waitcnt vmcnt(0)
	v_cmp_ne_u32_e32 vcc, 0, v5
	s_cbranch_vccnz .LBB4_45
; %bb.66:                               ;   in Loop: Header=BB4_46 Depth=3
	v_mov_b32_e32 v5, s11
	global_store_dword v4, v5, s[22:23]
	s_branch .LBB4_45
.LBB4_67:                               ;   in Loop: Header=BB4_27 Depth=2
	v_readlane_b32 s18, v64, 32
	v_readlane_b32 s19, v64, 33
	v_mul_f64 v[34:35], v[6:7], v[34:35]
	s_mov_b64 s[72:73], s[6:7]
	s_mov_b32 s71, s38
	s_nop 1
	global_load_dwordx2 v[36:37], v4, s[18:19]
	s_waitcnt vmcnt(0)
	v_cmp_le_f64_e64 s[18:19], |v[36:37]|, v[34:35]
	s_and_b64 vcc, exec, s[18:19]
	s_cbranch_vccz .LBB4_70
; %bb.68:                               ;   in Loop: Header=BB4_27 Depth=2
	global_load_dword v5, v4, s[22:23]
	s_waitcnt vmcnt(0)
	v_cmp_ne_u32_e32 vcc, 0, v5
	s_cbranch_vccnz .LBB4_70
; %bb.69:                               ;   in Loop: Header=BB4_27 Depth=2
	global_store_dword v4, v53, s[22:23]
.LBB4_70:                               ;   in Loop: Header=BB4_27 Depth=2
	s_or_b64 exec, exec, s[0:1]
	v_add_f64 v[32:33], v[2:3], -v[32:33]
	v_cmp_gt_f64_e64 s[68:69], |v[32:33]|, v[22:23]
	s_mov_b32 s11, 0
	s_mov_b32 s54, 0
	v_mov_b64_e32 v[32:33], 0
	v_bfrev_b32_e32 v5, -2
	s_and_saveexec_b64 s[18:19], s[12:13]
	s_cbranch_execz .LBB4_74
.LBB4_71:                               ;   in Loop: Header=BB4_27 Depth=2
	v_mov_b64_e32 v[32:33], 0
	v_bfrev_b32_e32 v5, -2
	s_mov_b64 s[26:27], 0
	v_mov_b64_e32 v[34:35], v[10:11]
	v_mov_b32_e32 v36, v0
.LBB4_72:                               ;   Parent Loop BB4_17 Depth=1
                                        ;     Parent Loop BB4_27 Depth=2
                                        ; =>    This Inner Loop Header: Depth=3
	global_load_dwordx2 v[38:39], v[34:35], off
	v_cmp_eq_u32_e32 vcc, s25, v5
	v_add_u32_e32 v37, 1, v36
	v_add_u32_e32 v36, 0x100, v36
	v_cmp_ge_u32_e64 s[0:1], v36, v53
	v_lshl_add_u64 v[34:35], v[34:35], 0, s[86:87]
	s_waitcnt vmcnt(0)
	v_cmp_lt_f64_e64 s[30:31], v[32:33], |v[38:39]|
	v_and_b32_e32 v40, 0x7fffffff, v39
	s_or_b64 vcc, s[30:31], vcc
	v_cndmask_b32_e32 v33, v33, v40, vcc
	v_cndmask_b32_e32 v32, v32, v38, vcc
	s_or_b64 s[26:27], s[0:1], s[26:27]
	v_cndmask_b32_e32 v5, v5, v37, vcc
	s_andn2_b64 exec, exec, s[26:27]
	s_cbranch_execnz .LBB4_72
; %bb.73:                               ;   in Loop: Header=BB4_27 Depth=2
	s_or_b64 exec, exec, s[26:27]
.LBB4_74:                               ;   Parent Loop BB4_17 Depth=1
                                        ;     Parent Loop BB4_27 Depth=2
                                        ; =>    This Loop Header: Depth=3
                                        ;         Child Loop BB4_109 Depth 4
                                        ;         Child Loop BB4_112 Depth 4
	;; [unrolled: 1-line block ×4, first 2 shown]
                                        ;           Child Loop BB4_128 Depth 5
                                        ;         Child Loop BB4_142 Depth 4
                                        ;           Child Loop BB4_143 Depth 5
                                        ;           Child Loop BB4_145 Depth 5
                                        ;         Child Loop BB4_150 Depth 4
	s_or_b64 exec, exec, s[18:19]
	ds_write_b64 v1, v[32:33]
	ds_write_b32 v49, v5 offset:4096
	s_waitcnt lgkmcnt(0)
	s_barrier
	s_and_saveexec_b64 s[18:19], s[2:3]
	s_cbranch_execz .LBB4_80
; %bb.75:                               ;   in Loop: Header=BB4_74 Depth=3
	ds_read_b64 v[34:35], v1 offset:1024
	ds_read_b32 v36, v49 offset:4608
	s_waitcnt lgkmcnt(1)
	v_cmp_lt_f64_e64 s[26:27], v[32:33], v[34:35]
	v_cmp_nlt_f64_e32 vcc, v[32:33], v[34:35]
	s_and_saveexec_b64 s[30:31], vcc
	s_cbranch_execz .LBB4_77
; %bb.76:                               ;   in Loop: Header=BB4_74 Depth=3
	v_cmp_eq_f64_e32 vcc, v[32:33], v[34:35]
	s_waitcnt lgkmcnt(0)
	v_cmp_gt_i32_e64 s[0:1], v5, v36
	s_and_b64 s[0:1], vcc, s[0:1]
	s_andn2_b64 s[26:27], s[26:27], exec
	s_and_b64 s[0:1], s[0:1], exec
	s_or_b64 s[26:27], s[26:27], s[0:1]
.LBB4_77:                               ;   in Loop: Header=BB4_74 Depth=3
	s_or_b64 exec, exec, s[30:31]
	s_and_saveexec_b64 s[0:1], s[26:27]
	s_cbranch_execz .LBB4_79
; %bb.78:                               ;   in Loop: Header=BB4_74 Depth=3
	s_waitcnt lgkmcnt(0)
	v_mov_b32_e32 v5, v36
	v_mov_b64_e32 v[32:33], v[34:35]
	ds_write_b64 v1, v[34:35]
	ds_write_b32 v49, v36 offset:4096
.LBB4_79:                               ;   in Loop: Header=BB4_74 Depth=3
	s_or_b64 exec, exec, s[0:1]
.LBB4_80:                               ;   in Loop: Header=BB4_74 Depth=3
	s_or_b64 exec, exec, s[18:19]
	s_waitcnt lgkmcnt(0)
	s_barrier
	s_and_saveexec_b64 s[26:27], s[4:5]
	s_cbranch_execz .LBB4_107
; %bb.81:                               ;   in Loop: Header=BB4_74 Depth=3
	ds_read_b64 v[34:35], v1 offset:512
	ds_read_b32 v36, v49 offset:4352
	s_waitcnt lgkmcnt(1)
	v_cmp_lt_f64_e64 s[18:19], v[32:33], v[34:35]
	v_cmp_nlt_f64_e32 vcc, v[32:33], v[34:35]
	s_and_saveexec_b64 s[30:31], vcc
	s_cbranch_execz .LBB4_83
; %bb.82:                               ;   in Loop: Header=BB4_74 Depth=3
	v_cmp_eq_f64_e32 vcc, v[32:33], v[34:35]
	s_waitcnt lgkmcnt(0)
	v_cmp_gt_i32_e64 s[0:1], v5, v36
	s_and_b64 s[0:1], vcc, s[0:1]
	s_andn2_b64 s[18:19], s[18:19], exec
	s_and_b64 s[0:1], s[0:1], exec
	s_or_b64 s[18:19], s[18:19], s[0:1]
.LBB4_83:                               ;   in Loop: Header=BB4_74 Depth=3
	s_or_b64 exec, exec, s[30:31]
	s_and_saveexec_b64 s[0:1], s[18:19]
	s_cbranch_execz .LBB4_85
; %bb.84:                               ;   in Loop: Header=BB4_74 Depth=3
	v_mov_b64_e32 v[32:33], v[34:35]
	s_waitcnt lgkmcnt(0)
	v_mov_b32_e32 v5, v36
	ds_write_b64 v1, v[34:35]
	ds_write_b32 v49, v36 offset:4096
.LBB4_85:                               ;   in Loop: Header=BB4_74 Depth=3
	s_or_b64 exec, exec, s[0:1]
	ds_read_b64 v[34:35], v1 offset:256
	s_waitcnt lgkmcnt(1)
	ds_read_b32 v36, v49 offset:4224
	s_waitcnt lgkmcnt(1)
	v_cmp_lt_f64_e64 s[18:19], v[32:33], v[34:35]
	v_cmp_nlt_f64_e32 vcc, v[32:33], v[34:35]
	s_and_saveexec_b64 s[30:31], vcc
	s_cbranch_execz .LBB4_87
; %bb.86:                               ;   in Loop: Header=BB4_74 Depth=3
	v_cmp_eq_f64_e32 vcc, v[32:33], v[34:35]
	s_waitcnt lgkmcnt(0)
	v_cmp_gt_i32_e64 s[0:1], v5, v36
	s_and_b64 s[0:1], vcc, s[0:1]
	s_andn2_b64 s[18:19], s[18:19], exec
	s_and_b64 s[0:1], s[0:1], exec
	s_or_b64 s[18:19], s[18:19], s[0:1]
.LBB4_87:                               ;   in Loop: Header=BB4_74 Depth=3
	s_or_b64 exec, exec, s[30:31]
	s_and_saveexec_b64 s[0:1], s[18:19]
	s_cbranch_execz .LBB4_89
; %bb.88:                               ;   in Loop: Header=BB4_74 Depth=3
	v_mov_b64_e32 v[32:33], v[34:35]
	s_waitcnt lgkmcnt(0)
	v_mov_b32_e32 v5, v36
	ds_write_b64 v1, v[34:35]
	ds_write_b32 v49, v36 offset:4096
.LBB4_89:                               ;   in Loop: Header=BB4_74 Depth=3
	s_or_b64 exec, exec, s[0:1]
	ds_read_b64 v[34:35], v1 offset:128
	s_waitcnt lgkmcnt(1)
	;; [unrolled: 28-line block ×4, first 2 shown]
	ds_read_b32 v36, v49 offset:4112
	s_waitcnt lgkmcnt(1)
	v_cmp_lt_f64_e64 s[18:19], v[32:33], v[34:35]
	v_cmp_nlt_f64_e32 vcc, v[32:33], v[34:35]
	s_and_saveexec_b64 s[30:31], vcc
	s_cbranch_execz .LBB4_99
; %bb.98:                               ;   in Loop: Header=BB4_74 Depth=3
	v_cmp_eq_f64_e32 vcc, v[32:33], v[34:35]
	s_waitcnt lgkmcnt(0)
	v_cmp_gt_i32_e64 s[0:1], v5, v36
	s_and_b64 s[0:1], vcc, s[0:1]
	s_andn2_b64 s[18:19], s[18:19], exec
	s_and_b64 s[0:1], s[0:1], exec
	s_or_b64 s[18:19], s[18:19], s[0:1]
.LBB4_99:                               ;   in Loop: Header=BB4_74 Depth=3
	s_or_b64 exec, exec, s[30:31]
	s_and_saveexec_b64 s[0:1], s[18:19]
	s_cbranch_execz .LBB4_101
; %bb.100:                              ;   in Loop: Header=BB4_74 Depth=3
	v_mov_b64_e32 v[32:33], v[34:35]
	s_waitcnt lgkmcnt(0)
	v_mov_b32_e32 v5, v36
	ds_write_b64 v1, v[34:35]
	ds_write_b32 v49, v36 offset:4096
.LBB4_101:                              ;   in Loop: Header=BB4_74 Depth=3
	s_or_b64 exec, exec, s[0:1]
	ds_read_b64 v[34:35], v1 offset:16
	s_waitcnt lgkmcnt(1)
	ds_read_b32 v36, v49 offset:4104
	s_waitcnt lgkmcnt(1)
	v_cmp_lt_f64_e64 s[18:19], v[32:33], v[34:35]
	v_cmp_nlt_f64_e32 vcc, v[32:33], v[34:35]
	s_and_saveexec_b64 s[30:31], vcc
	s_cbranch_execz .LBB4_103
; %bb.102:                              ;   in Loop: Header=BB4_74 Depth=3
	v_cmp_eq_f64_e32 vcc, v[32:33], v[34:35]
	s_waitcnt lgkmcnt(0)
	v_cmp_gt_i32_e64 s[0:1], v5, v36
	s_and_b64 s[0:1], vcc, s[0:1]
	s_andn2_b64 s[18:19], s[18:19], exec
	s_and_b64 s[0:1], s[0:1], exec
	s_or_b64 s[18:19], s[18:19], s[0:1]
.LBB4_103:                              ;   in Loop: Header=BB4_74 Depth=3
	s_or_b64 exec, exec, s[30:31]
	s_and_saveexec_b64 s[0:1], s[18:19]
	s_cbranch_execz .LBB4_105
; %bb.104:                              ;   in Loop: Header=BB4_74 Depth=3
	v_mov_b64_e32 v[32:33], v[34:35]
	s_waitcnt lgkmcnt(0)
	v_mov_b32_e32 v5, v36
	ds_write_b64 v1, v[34:35]
	ds_write_b32 v49, v36 offset:4096
.LBB4_105:                              ;   in Loop: Header=BB4_74 Depth=3
	s_or_b64 exec, exec, s[0:1]
	ds_read_b64 v[34:35], v1 offset:8
	s_waitcnt lgkmcnt(1)
	ds_read_b32 v36, v49 offset:4100
	s_waitcnt lgkmcnt(1)
	v_cmp_eq_f64_e64 s[0:1], v[32:33], v[34:35]
	s_waitcnt lgkmcnt(0)
	v_cmp_gt_i32_e64 s[18:19], v5, v36
	v_cmp_lt_f64_e32 vcc, v[32:33], v[34:35]
	s_and_b64 s[0:1], s[0:1], s[18:19]
	s_or_b64 s[0:1], vcc, s[0:1]
	s_and_b64 exec, exec, s[0:1]
	s_cbranch_execz .LBB4_107
; %bb.106:                              ;   in Loop: Header=BB4_74 Depth=3
	ds_write_b64 v1, v[34:35]
	ds_write_b32 v49, v36 offset:4096
.LBB4_107:                              ;   in Loop: Header=BB4_74 Depth=3
	s_or_b64 exec, exec, s[26:27]
	s_waitcnt lgkmcnt(0)
	s_barrier
	s_and_saveexec_b64 s[0:1], s[8:9]
	s_cbranch_execz .LBB4_110
; %bb.108:                              ;   in Loop: Header=BB4_74 Depth=3
	global_load_dwordx2 v[32:33], v4, s[78:79]
	ds_read_b64 v[34:35], v52
	v_mov_b32_e32 v5, s49
	v_mov_b32_e32 v36, s48
	s_mov_b64 s[18:19], 0
	s_waitcnt vmcnt(0)
	v_and_b32_e32 v37, 0x7fffffff, v33
	v_cmp_lt_f64_e64 vcc, s[48:49], |v[32:33]|
	s_nop 1
	v_cndmask_b32_e32 v33, v5, v37, vcc
	v_cndmask_b32_e32 v32, v36, v32, vcc
	v_mul_f64 v[36:37], v[26:27], v[32:33]
	s_waitcnt lgkmcnt(0)
	v_div_scale_f64 v[38:39], s[26:27], v[34:35], v[34:35], v[36:37]
	v_rcp_f64_e32 v[40:41], v[38:39]
	v_div_scale_f64 v[42:43], vcc, v[36:37], v[34:35], v[36:37]
	v_mov_b64_e32 v[32:33], v[10:11]
	v_fma_f64 v[44:45], -v[38:39], v[40:41], 1.0
	v_fmac_f64_e32 v[40:41], v[40:41], v[44:45]
	v_fma_f64 v[44:45], -v[38:39], v[40:41], 1.0
	v_fmac_f64_e32 v[40:41], v[40:41], v[44:45]
	v_mul_f64 v[44:45], v[42:43], v[40:41]
	v_fma_f64 v[38:39], -v[38:39], v[44:45], v[42:43]
	v_div_fmas_f64 v[38:39], v[38:39], v[40:41], v[44:45]
	v_div_fixup_f64 v[34:35], v[38:39], v[34:35], v[36:37]
	v_mov_b32_e32 v5, v0
.LBB4_109:                              ;   Parent Loop BB4_17 Depth=1
                                        ;     Parent Loop BB4_27 Depth=2
                                        ;       Parent Loop BB4_74 Depth=3
                                        ; =>      This Inner Loop Header: Depth=4
	global_load_dwordx2 v[36:37], v[32:33], off
	v_add_u32_e32 v5, 0x100, v5
	v_cmp_lt_i32_e32 vcc, s96, v5
	s_or_b64 s[18:19], vcc, s[18:19]
	s_waitcnt vmcnt(0)
	v_mul_f64 v[36:37], v[34:35], v[36:37]
	global_store_dwordx2 v[32:33], v[36:37], off
	v_lshl_add_u64 v[32:33], v[32:33], 0, s[86:87]
	s_andn2_b64 exec, exec, s[18:19]
	s_cbranch_execnz .LBB4_109
.LBB4_110:                              ;   in Loop: Header=BB4_74 Depth=3
	s_or_b64 exec, exec, s[0:1]
	s_barrier
	s_and_saveexec_b64 s[18:19], s[16:17]
	s_cbranch_execz .LBB4_138
; %bb.111:                              ;   in Loop: Header=BB4_74 Depth=3
	global_load_dwordx4 v[32:35], v4, s[36:37]
	global_load_dwordx2 v[36:37], v4, s[46:47] offset:8
	s_mov_b64 s[0:1], s[62:63]
	s_mov_b64 s[26:27], s[74:75]
	s_andn2_b64 vcc, exec, s[14:15]
	s_mov_b32 s30, s91
	s_waitcnt vmcnt(1)
	v_max_f64 v[34:35], |v[34:35]|, |v[34:35]|
	s_waitcnt vmcnt(0)
	v_max_f64 v[36:37], |v[36:37]|, |v[36:37]|
	v_max_f64 v[32:33], |v[32:33]|, |v[32:33]|
	v_max_f64 v[34:35], v[34:35], v[36:37]
	v_max_f64 v[32:33], v[32:33], v[34:35]
	s_cbranch_vccnz .LBB4_113
.LBB4_112:                              ;   Parent Loop BB4_17 Depth=1
                                        ;     Parent Loop BB4_27 Depth=2
                                        ;       Parent Loop BB4_74 Depth=3
                                        ; =>      This Inner Loop Header: Depth=4
	s_add_u32 s34, s26, s40
	s_addc_u32 s35, s27, s64
	global_load_dwordx2 v[34:35], v4, s[26:27]
	global_load_dwordx2 v[36:37], v4, s[0:1]
	;; [unrolled: 1-line block ×3, first 2 shown]
	s_add_i32 s30, s30, -1
	s_add_u32 s26, s26, 8
	v_max_f64 v[32:33], v[32:33], v[32:33]
	s_addc_u32 s27, s27, 0
	s_add_u32 s0, s0, 8
	s_addc_u32 s1, s1, 0
	s_cmp_lg_u32 s30, 0
	s_waitcnt vmcnt(2)
	v_max_f64 v[34:35], |v[34:35]|, |v[34:35]|
	s_waitcnt vmcnt(1)
	v_max_f64 v[36:37], |v[36:37]|, |v[36:37]|
	v_max_f64 v[32:33], v[32:33], v[34:35]
	s_waitcnt vmcnt(0)
	v_max_f64 v[34:35], |v[38:39]|, |v[38:39]|
	v_max_f64 v[34:35], v[34:35], v[36:37]
	v_max_f64 v[32:33], v[32:33], v[34:35]
	s_cbranch_scc1 .LBB4_112
.LBB4_113:                              ;   in Loop: Header=BB4_74 Depth=3
	s_mov_b32 s38, s96
	s_mov_b64 s[0:1], s[66:67]
	s_mov_b64 s[26:27], s[60:61]
	;; [unrolled: 1-line block ×3, first 2 shown]
	s_branch .LBB4_115
.LBB4_114:                              ;   in Loop: Header=BB4_115 Depth=4
	s_add_u32 s34, s34, 8
	s_addc_u32 s35, s35, 0
	s_add_u32 s26, s26, 8
	s_addc_u32 s27, s27, 0
	;; [unrolled: 2-line block ×3, first 2 shown]
	s_add_i32 s38, s38, -1
	s_cmp_lg_u32 s38, 0
	s_cbranch_scc0 .LBB4_119
.LBB4_115:                              ;   Parent Loop BB4_17 Depth=1
                                        ;     Parent Loop BB4_27 Depth=2
                                        ;       Parent Loop BB4_74 Depth=3
                                        ; =>      This Inner Loop Header: Depth=4
	global_load_dword v5, v4, s[0:1]
	s_waitcnt vmcnt(0)
	v_cmp_ne_u32_e32 vcc, 0, v5
	s_cbranch_vccz .LBB4_117
; %bb.116:                              ;   in Loop: Header=BB4_115 Depth=4
	global_load_dwordx4 v[34:37], v4, s[34:35] offset:-8
	s_waitcnt vmcnt(0)
	global_store_dwordx2 v4, v[36:37], s[34:35] offset:-8
	global_load_dwordx2 v[38:39], v4, s[26:27]
	s_waitcnt vmcnt(0)
	v_fma_f64 v[34:35], -v[36:37], v[38:39], v[34:35]
	global_store_dwordx2 v4, v[34:35], s[34:35]
	s_cbranch_execnz .LBB4_114
	s_branch .LBB4_118
.LBB4_117:                              ;   in Loop: Header=BB4_115 Depth=4
.LBB4_118:                              ;   in Loop: Header=BB4_115 Depth=4
	global_load_dwordx4 v[34:37], v4, s[34:35] offset:-8
	global_load_dwordx2 v[38:39], v4, s[26:27]
	s_waitcnt vmcnt(0)
	v_fma_f64 v[34:35], -v[38:39], v[34:35], v[36:37]
	global_store_dwordx2 v4, v[34:35], s[34:35]
	s_branch .LBB4_114
.LBB4_119:                              ;   in Loop: Header=BB4_74 Depth=3
	v_mul_f64 v[32:33], s[48:49], v[32:33]
	v_cmp_eq_f64_e32 vcc, 0, v[32:33]
	s_and_b64 s[0:1], vcc, exec
	v_readfirstlane_b32 s26, v33
	v_readfirstlane_b32 s0, v32
	s_cselect_b32 s55, s49, s26
	s_cselect_b32 s58, s48, s0
	s_and_b32 s59, s55, 0x7fffffff
	s_mov_b32 s70, s58
	s_mov_b32 s38, s96
	s_branch .LBB4_122
.LBB4_120:                              ;   in Loop: Header=BB4_122 Depth=4
	v_mov_b64_e32 v[34:35], v[42:43]
.LBB4_121:                              ;   in Loop: Header=BB4_122 Depth=4
	v_div_scale_f64 v[36:37], s[0:1], v[34:35], v[34:35], v[32:33]
	v_rcp_f64_e32 v[38:39], v[36:37]
	v_div_scale_f64 v[40:41], vcc, v[32:33], v[34:35], v[32:33]
	s_add_i32 s0, s38, -1
	v_fma_f64 v[42:43], -v[36:37], v[38:39], 1.0
	v_fmac_f64_e32 v[38:39], v[38:39], v[42:43]
	v_fma_f64 v[42:43], -v[36:37], v[38:39], 1.0
	v_fmac_f64_e32 v[38:39], v[38:39], v[42:43]
	v_mul_f64 v[42:43], v[40:41], v[38:39]
	v_fma_f64 v[36:37], -v[36:37], v[42:43], v[40:41]
	v_div_fmas_f64 v[36:37], v[36:37], v[38:39], v[42:43]
	v_div_fixup_f64 v[32:33], v[36:37], v[34:35], v[32:33]
	s_cmp_gt_i32 s38, 0
	s_mov_b32 s38, s0
	global_store_dwordx2 v4, v[32:33], s[26:27]
	s_cbranch_scc0 .LBB4_138
.LBB4_122:                              ;   Parent Loop BB4_17 Depth=1
                                        ;     Parent Loop BB4_27 Depth=2
                                        ;       Parent Loop BB4_74 Depth=3
                                        ; =>      This Loop Header: Depth=4
                                        ;           Child Loop BB4_128 Depth 5
	s_lshl_b64 s[0:1], s[38:39], 3
	s_add_u32 s26, s20, s0
	s_addc_u32 s27, s21, s1
	global_load_dwordx2 v[32:33], v4, s[26:27]
	s_cmp_ge_i32 s38, s96
	s_cbranch_scc1 .LBB4_124
; %bb.123:                              ;   in Loop: Header=BB4_122 Depth=4
	s_add_u32 s30, s46, s0
	s_addc_u32 s31, s47, s1
	global_load_dwordx2 v[34:35], v4, s[30:31] offset:8
	global_load_dwordx2 v[36:37], v4, s[26:27] offset:8
	s_waitcnt vmcnt(0)
	v_fma_f64 v[32:33], -v[34:35], v[36:37], v[32:33]
.LBB4_124:                              ;   in Loop: Header=BB4_122 Depth=4
	s_cmp_ge_i32 s38, s91
	s_cbranch_scc1 .LBB4_126
; %bb.125:                              ;   in Loop: Header=BB4_122 Depth=4
	s_add_u32 s30, s62, s0
	s_addc_u32 s31, s63, s1
	global_load_dwordx2 v[34:35], v4, s[30:31]
	global_load_dwordx2 v[36:37], v4, s[26:27] offset:16
	s_waitcnt vmcnt(0)
	v_fma_f64 v[32:33], -v[34:35], v[36:37], v[32:33]
.LBB4_126:                              ;   in Loop: Header=BB4_122 Depth=4
	s_add_u32 s0, s36, s0
	s_addc_u32 s1, s37, s1
	global_load_dwordx2 v[34:35], v4, s[0:1]
	s_waitcnt vmcnt(0)
	v_cmp_nlt_f64_e64 s[0:1], |v[34:35]|, 1.0
	s_and_b64 vcc, exec, s[0:1]
	s_cbranch_vccnz .LBB4_121
; %bb.127:                              ;   in Loop: Header=BB4_122 Depth=4
	v_cmp_nle_f64_e32 vcc, 0, v[34:35]
	s_xor_b32 s30, s59, 0x80000000
	s_and_b32 s31, s55, 0x7fffffff
	s_and_b64 s[0:1], vcc, exec
	s_cselect_b32 s1, s30, s31
	s_cselect_b32 s0, s70, s58
	v_and_b32_e32 v41, 0x7fffffff, v35
	v_mov_b32_e32 v40, v34
	v_mul_f64 v[36:37], s[50:51], |v[32:33]|
	v_mov_b64_e32 v[38:39], s[0:1]
.LBB4_128:                              ;   Parent Loop BB4_17 Depth=1
                                        ;     Parent Loop BB4_27 Depth=2
                                        ;       Parent Loop BB4_74 Depth=3
                                        ;         Parent Loop BB4_122 Depth=4
                                        ; =>        This Inner Loop Header: Depth=5
	v_cmp_ngt_f64_e32 vcc, s[50:51], v[40:41]
	s_mov_b64 s[0:1], -1
	s_mov_b64 s[30:31], 0
	s_mov_b64 s[34:35], -1
	s_cbranch_vccnz .LBB4_132
; %bb.129:                              ;   in Loop: Header=BB4_128 Depth=5
	s_andn2_b64 vcc, exec, s[34:35]
	s_cbranch_vccz .LBB4_133
.LBB4_130:                              ;   in Loop: Header=BB4_128 Depth=5
	s_andn2_b64 vcc, exec, s[30:31]
	s_cbranch_vccnz .LBB4_134
.LBB4_131:                              ;   in Loop: Header=BB4_128 Depth=5
	v_add_f64 v[42:43], v[34:35], v[38:39]
	v_add_f64 v[38:39], v[38:39], v[38:39]
	v_and_b32_e32 v41, 0x7fffffff, v43
	v_mov_b32_e32 v40, v42
	v_cmp_nlt_f64_e64 s[30:31], |v[42:43]|, 1.0
	s_mov_b64 s[0:1], -1
	s_andn2_b64 vcc, exec, s[30:31]
	s_cbranch_vccnz .LBB4_135
	s_branch .LBB4_136
.LBB4_132:                              ;   in Loop: Header=BB4_128 Depth=5
	v_mul_f64 v[42:43], v[8:9], v[40:41]
	v_cmp_gt_f64_e64 s[30:31], |v[32:33]|, v[42:43]
	s_cbranch_execnz .LBB4_130
.LBB4_133:                              ;   in Loop: Header=BB4_128 Depth=5
	v_cmp_eq_f64_e32 vcc, 0, v[34:35]
	v_cmp_gt_f64_e64 s[0:1], v[36:37], v[40:41]
	s_or_b64 s[30:31], vcc, s[0:1]
	s_mov_b64 s[0:1], 0
	s_andn2_b64 vcc, exec, s[30:31]
	s_cbranch_vccz .LBB4_131
.LBB4_134:                              ;   in Loop: Header=BB4_122 Depth=4
                                        ; implicit-def: $vgpr38_vgpr39
                                        ; implicit-def: $vgpr40_vgpr41
	v_mov_b64_e32 v[42:43], v[34:35]
	s_branch .LBB4_136
.LBB4_135:                              ;   in Loop: Header=BB4_128 Depth=5
	v_mov_b64_e32 v[34:35], v[42:43]
	s_branch .LBB4_128
.LBB4_136:                              ;   in Loop: Header=BB4_122 Depth=4
	s_andn2_b64 vcc, exec, s[0:1]
	s_cbranch_vccz .LBB4_120
; %bb.137:                              ;   in Loop: Header=BB4_122 Depth=4
	v_mul_f64 v[32:33], v[8:9], v[32:33]
	v_mul_f64 v[42:43], v[8:9], v[34:35]
	s_branch .LBB4_120
.LBB4_138:                              ;   in Loop: Header=BB4_74 Depth=3
	s_or_b64 exec, exec, s[18:19]
	s_andn2_b64 vcc, exec, s[84:85]
	s_barrier
	s_cbranch_vccnz .LBB4_148
; %bb.139:                              ;   in Loop: Header=BB4_74 Depth=3
	s_and_b64 s[0:1], s[68:69], exec
	s_cselect_b32 s30, s80, s89
	s_cmp_eq_u32 s30, s80
	s_mov_b32 s89, s80
	s_cbranch_scc1 .LBB4_148
; %bb.140:                              ;   in Loop: Header=BB4_74 Depth=3
	s_cmp_lt_i32 s30, s80
	s_cselect_b64 s[0:1], -1, 0
	s_and_b64 s[18:19], s[16:17], s[0:1]
	s_and_saveexec_b64 s[0:1], s[18:19]
	s_cbranch_execz .LBB4_147
; %bb.141:                              ;   in Loop: Header=BB4_74 Depth=3
	s_mul_i32 s18, s41, s30
	s_add_i32 s31, s92, s18
	s_mov_b32 s34, s30
.LBB4_142:                              ;   Parent Loop BB4_17 Depth=1
                                        ;     Parent Loop BB4_27 Depth=2
                                        ;       Parent Loop BB4_74 Depth=3
                                        ; =>      This Loop Header: Depth=4
                                        ;           Child Loop BB4_143 Depth 5
                                        ;           Child Loop BB4_145 Depth 5
	v_mov_b64_e32 v[32:33], 0
	s_mov_b64 s[18:19], s[20:21]
	s_mov_b32 s26, s31
	s_mov_b32 s35, s93
.LBB4_143:                              ;   Parent Loop BB4_17 Depth=1
                                        ;     Parent Loop BB4_27 Depth=2
                                        ;       Parent Loop BB4_74 Depth=3
                                        ;         Parent Loop BB4_142 Depth=4
                                        ; =>        This Inner Loop Header: Depth=5
	s_ashr_i32 s27, s26, 31
	s_lshl_b64 s[58:59], s[26:27], 4
	s_add_u32 s58, s28, s58
	s_addc_u32 s59, s29, s59
	global_load_dwordx2 v[34:35], v4, s[18:19]
	global_load_dwordx2 v[36:37], v4, s[58:59]
	s_add_i32 s35, s35, -1
	s_add_i32 s26, s26, 1
	s_add_u32 s18, s18, 8
	s_addc_u32 s19, s19, 0
	s_cmp_lg_u32 s35, 0
	s_waitcnt vmcnt(0)
	v_fmac_f64_e32 v[32:33], v[34:35], v[36:37]
	s_cbranch_scc1 .LBB4_143
; %bb.144:                              ;   in Loop: Header=BB4_142 Depth=4
	s_mov_b32 s26, 0
	s_mov_b64 s[18:19], s[20:21]
.LBB4_145:                              ;   Parent Loop BB4_17 Depth=1
                                        ;     Parent Loop BB4_27 Depth=2
                                        ;       Parent Loop BB4_74 Depth=3
                                        ;         Parent Loop BB4_142 Depth=4
                                        ; =>        This Inner Loop Header: Depth=5
	s_add_i32 s58, s31, s26
	s_ashr_i32 s59, s58, 31
	s_lshl_b64 s[58:59], s[58:59], 4
	s_add_u32 s58, s28, s58
	s_addc_u32 s59, s29, s59
	global_load_dwordx2 v[34:35], v4, s[18:19]
	global_load_dwordx2 v[36:37], v4, s[58:59]
	s_add_i32 s26, s26, 1
	s_waitcnt vmcnt(0)
	v_fma_f64 v[34:35], -v[32:33], v[36:37], v[34:35]
	global_store_dwordx2 v4, v[34:35], s[18:19]
	s_add_u32 s18, s18, 8
	s_addc_u32 s19, s19, 0
	s_cmp_lg_u32 s93, s26
	s_cbranch_scc1 .LBB4_145
; %bb.146:                              ;   in Loop: Header=BB4_142 Depth=4
	s_add_i32 s34, s34, 1
	s_add_i32 s31, s31, s41
	s_cmp_lt_i32 s34, s80
	s_cbranch_scc1 .LBB4_142
.LBB4_147:                              ;   in Loop: Header=BB4_74 Depth=3
	s_or_b64 exec, exec, s[0:1]
	s_mov_b32 s89, s30
	s_barrier
.LBB4_148:                              ;   in Loop: Header=BB4_74 Depth=3
	v_mov_b64_e32 v[32:33], 0
	v_bfrev_b32_e32 v5, -2
	s_and_saveexec_b64 s[18:19], s[12:13]
	s_cbranch_execz .LBB4_152
; %bb.149:                              ;   in Loop: Header=BB4_74 Depth=3
	v_mov_b64_e32 v[32:33], 0
	v_bfrev_b32_e32 v5, -2
	s_mov_b64 s[26:27], 0
	v_mov_b64_e32 v[34:35], v[10:11]
	v_mov_b32_e32 v36, v0
.LBB4_150:                              ;   Parent Loop BB4_17 Depth=1
                                        ;     Parent Loop BB4_27 Depth=2
                                        ;       Parent Loop BB4_74 Depth=3
                                        ; =>      This Inner Loop Header: Depth=4
	global_load_dwordx2 v[38:39], v[34:35], off
	v_cmp_eq_u32_e32 vcc, s25, v5
	v_add_u32_e32 v37, 1, v36
	v_add_u32_e32 v36, 0x100, v36
	v_cmp_ge_u32_e64 s[0:1], v36, v53
	v_lshl_add_u64 v[34:35], v[34:35], 0, s[86:87]
	s_waitcnt vmcnt(0)
	v_cmp_lt_f64_e64 s[30:31], v[32:33], |v[38:39]|
	v_and_b32_e32 v40, 0x7fffffff, v39
	s_or_b64 vcc, s[30:31], vcc
	v_cndmask_b32_e32 v33, v33, v40, vcc
	v_cndmask_b32_e32 v32, v32, v38, vcc
	s_or_b64 s[26:27], s[0:1], s[26:27]
	v_cndmask_b32_e32 v5, v5, v37, vcc
	s_andn2_b64 exec, exec, s[26:27]
	s_cbranch_execnz .LBB4_150
; %bb.151:                              ;   in Loop: Header=BB4_74 Depth=3
	s_or_b64 exec, exec, s[26:27]
.LBB4_152:                              ;   in Loop: Header=BB4_74 Depth=3
	s_or_b64 exec, exec, s[18:19]
	ds_write_b64 v1, v[32:33]
	ds_write_b32 v49, v5 offset:4096
	s_waitcnt lgkmcnt(0)
	s_barrier
	s_and_saveexec_b64 s[18:19], s[2:3]
	s_cbranch_execz .LBB4_158
; %bb.153:                              ;   in Loop: Header=BB4_74 Depth=3
	ds_read_b64 v[34:35], v1 offset:1024
	ds_read_b32 v36, v49 offset:4608
	s_waitcnt lgkmcnt(1)
	v_cmp_lt_f64_e64 s[26:27], v[32:33], v[34:35]
	v_cmp_nlt_f64_e32 vcc, v[32:33], v[34:35]
	s_and_saveexec_b64 s[30:31], vcc
	s_cbranch_execz .LBB4_155
; %bb.154:                              ;   in Loop: Header=BB4_74 Depth=3
	v_cmp_eq_f64_e32 vcc, v[32:33], v[34:35]
	s_waitcnt lgkmcnt(0)
	v_cmp_gt_i32_e64 s[0:1], v5, v36
	s_and_b64 s[0:1], vcc, s[0:1]
	s_andn2_b64 s[26:27], s[26:27], exec
	s_and_b64 s[0:1], s[0:1], exec
	s_or_b64 s[26:27], s[26:27], s[0:1]
.LBB4_155:                              ;   in Loop: Header=BB4_74 Depth=3
	s_or_b64 exec, exec, s[30:31]
	s_and_saveexec_b64 s[0:1], s[26:27]
	s_cbranch_execz .LBB4_157
; %bb.156:                              ;   in Loop: Header=BB4_74 Depth=3
	s_waitcnt lgkmcnt(0)
	v_mov_b32_e32 v5, v36
	v_mov_b64_e32 v[32:33], v[34:35]
	ds_write_b64 v1, v[34:35]
	ds_write_b32 v49, v36 offset:4096
.LBB4_157:                              ;   in Loop: Header=BB4_74 Depth=3
	s_or_b64 exec, exec, s[0:1]
.LBB4_158:                              ;   in Loop: Header=BB4_74 Depth=3
	s_or_b64 exec, exec, s[18:19]
	s_waitcnt lgkmcnt(0)
	s_barrier
	s_and_saveexec_b64 s[26:27], s[4:5]
	s_cbranch_execz .LBB4_185
; %bb.159:                              ;   in Loop: Header=BB4_74 Depth=3
	ds_read_b64 v[34:35], v1 offset:512
	ds_read_b32 v36, v49 offset:4352
	s_waitcnt lgkmcnt(1)
	v_cmp_lt_f64_e64 s[18:19], v[32:33], v[34:35]
	v_cmp_nlt_f64_e32 vcc, v[32:33], v[34:35]
	s_and_saveexec_b64 s[30:31], vcc
	s_cbranch_execz .LBB4_161
; %bb.160:                              ;   in Loop: Header=BB4_74 Depth=3
	v_cmp_eq_f64_e32 vcc, v[32:33], v[34:35]
	s_waitcnt lgkmcnt(0)
	v_cmp_gt_i32_e64 s[0:1], v5, v36
	s_and_b64 s[0:1], vcc, s[0:1]
	s_andn2_b64 s[18:19], s[18:19], exec
	s_and_b64 s[0:1], s[0:1], exec
	s_or_b64 s[18:19], s[18:19], s[0:1]
.LBB4_161:                              ;   in Loop: Header=BB4_74 Depth=3
	s_or_b64 exec, exec, s[30:31]
	s_and_saveexec_b64 s[0:1], s[18:19]
	s_cbranch_execz .LBB4_163
; %bb.162:                              ;   in Loop: Header=BB4_74 Depth=3
	v_mov_b64_e32 v[32:33], v[34:35]
	s_waitcnt lgkmcnt(0)
	v_mov_b32_e32 v5, v36
	ds_write_b64 v1, v[34:35]
	ds_write_b32 v49, v36 offset:4096
.LBB4_163:                              ;   in Loop: Header=BB4_74 Depth=3
	s_or_b64 exec, exec, s[0:1]
	ds_read_b64 v[34:35], v1 offset:256
	s_waitcnt lgkmcnt(1)
	ds_read_b32 v36, v49 offset:4224
	s_waitcnt lgkmcnt(1)
	v_cmp_lt_f64_e64 s[18:19], v[32:33], v[34:35]
	v_cmp_nlt_f64_e32 vcc, v[32:33], v[34:35]
	s_and_saveexec_b64 s[30:31], vcc
	s_cbranch_execz .LBB4_165
; %bb.164:                              ;   in Loop: Header=BB4_74 Depth=3
	v_cmp_eq_f64_e32 vcc, v[32:33], v[34:35]
	s_waitcnt lgkmcnt(0)
	v_cmp_gt_i32_e64 s[0:1], v5, v36
	s_and_b64 s[0:1], vcc, s[0:1]
	s_andn2_b64 s[18:19], s[18:19], exec
	s_and_b64 s[0:1], s[0:1], exec
	s_or_b64 s[18:19], s[18:19], s[0:1]
.LBB4_165:                              ;   in Loop: Header=BB4_74 Depth=3
	s_or_b64 exec, exec, s[30:31]
	s_and_saveexec_b64 s[0:1], s[18:19]
	s_cbranch_execz .LBB4_167
; %bb.166:                              ;   in Loop: Header=BB4_74 Depth=3
	v_mov_b64_e32 v[32:33], v[34:35]
	s_waitcnt lgkmcnt(0)
	v_mov_b32_e32 v5, v36
	ds_write_b64 v1, v[34:35]
	ds_write_b32 v49, v36 offset:4096
.LBB4_167:                              ;   in Loop: Header=BB4_74 Depth=3
	s_or_b64 exec, exec, s[0:1]
	ds_read_b64 v[34:35], v1 offset:128
	s_waitcnt lgkmcnt(1)
	;; [unrolled: 28-line block ×6, first 2 shown]
	ds_read_b32 v36, v49 offset:4100
	s_waitcnt lgkmcnt(1)
	v_cmp_eq_f64_e64 s[0:1], v[32:33], v[34:35]
	s_waitcnt lgkmcnt(0)
	v_cmp_gt_i32_e64 s[18:19], v5, v36
	v_cmp_lt_f64_e32 vcc, v[32:33], v[34:35]
	s_and_b64 s[0:1], s[0:1], s[18:19]
	s_or_b64 s[0:1], vcc, s[0:1]
	s_and_b64 exec, exec, s[0:1]
	s_cbranch_execz .LBB4_185
; %bb.184:                              ;   in Loop: Header=BB4_74 Depth=3
	ds_write_b64 v1, v[34:35]
	ds_write_b32 v49, v36 offset:4096
.LBB4_185:                              ;   in Loop: Header=BB4_74 Depth=3
	s_or_b64 exec, exec, s[26:27]
	s_waitcnt lgkmcnt(0)
	s_barrier
	ds_read_b64 v[32:33], v52
	s_add_i32 s18, s54, 1
	s_waitcnt lgkmcnt(0)
	v_cmp_ge_f64_e32 vcc, v[32:33], v[24:25]
	s_nop 1
	v_cndmask_b32_e64 v5, 0, 1, vcc
	s_nop 0
	v_readfirstlane_b32 s0, v5
	s_add_i32 s11, s11, s0
	s_cmp_lt_u32 s54, 4
	s_cselect_b64 s[26:27], -1, 0
	s_cmp_lt_u32 s11, 2
	s_cselect_b64 s[0:1], -1, 0
	s_and_b64 s[26:27], s[26:27], s[0:1]
	s_and_b64 vcc, exec, s[26:27]
	s_cbranch_vccz .LBB4_187
; %bb.186:                              ;   in Loop: Header=BB4_74 Depth=3
	s_mov_b32 s54, s18
	v_mov_b64_e32 v[32:33], 0
	v_bfrev_b32_e32 v5, -2
	s_and_saveexec_b64 s[18:19], s[12:13]
	s_cbranch_execnz .LBB4_71
	s_branch .LBB4_74
.LBB4_187:                              ;   in Loop: Header=BB4_27 Depth=2
	v_readlane_b32 s6, v64, 5
	v_readlane_b32 s7, v64, 6
	s_and_b64 s[18:19], s[6:7], s[0:1]
	s_and_saveexec_b64 s[0:1], s[18:19]
	s_cbranch_execz .LBB4_189
; %bb.188:                              ;   in Loop: Header=BB4_27 Depth=2
	ds_read_b32 v32, v4
	s_add_i32 s11, s80, 1
	v_mov_b32_e32 v34, s11
	s_waitcnt lgkmcnt(0)
	v_ashrrev_i32_e32 v33, 31, v32
	v_add_u32_e32 v5, 1, v32
	v_lshlrev_b64 v[32:33], 2, v[32:33]
	v_lshl_add_u64 v[32:33], s[72:73], 0, v[32:33]
	global_store_dword v[32:33], v34, off
	ds_write_b32 v4, v5
.LBB4_189:                              ;   in Loop: Header=BB4_27 Depth=2
	s_or_b64 exec, exec, s[0:1]
	v_mov_b64_e32 v[32:33], 0
	v_bfrev_b32_e32 v5, -2
	s_and_saveexec_b64 s[18:19], s[12:13]
	v_readlane_b32 s58, v64, 26
	v_readlane_b32 s59, v64, 27
	s_cbranch_execz .LBB4_193
; %bb.190:                              ;   in Loop: Header=BB4_27 Depth=2
	v_mov_b64_e32 v[32:33], 0
	v_bfrev_b32_e32 v5, -2
	s_mov_b64 s[26:27], 0
	v_mov_b64_e32 v[34:35], v[10:11]
	v_mov_b32_e32 v36, v0
.LBB4_191:                              ;   Parent Loop BB4_17 Depth=1
                                        ;     Parent Loop BB4_27 Depth=2
                                        ; =>    This Inner Loop Header: Depth=3
	global_load_dwordx2 v[38:39], v[34:35], off
	v_cmp_eq_u32_e32 vcc, s25, v5
	v_add_u32_e32 v37, 1, v36
	v_add_u32_e32 v36, 0x100, v36
	v_cmp_ge_u32_e64 s[0:1], v36, v53
	v_lshl_add_u64 v[34:35], v[34:35], 0, s[86:87]
	s_waitcnt vmcnt(0)
	v_cmp_lt_f64_e64 s[30:31], v[32:33], |v[38:39]|
	v_and_b32_e32 v40, 0x7fffffff, v39
	s_or_b64 vcc, s[30:31], vcc
	v_cndmask_b32_e32 v33, v33, v40, vcc
	v_cndmask_b32_e32 v32, v32, v38, vcc
	s_or_b64 s[26:27], s[0:1], s[26:27]
	v_cndmask_b32_e32 v5, v5, v37, vcc
	s_andn2_b64 exec, exec, s[26:27]
	s_cbranch_execnz .LBB4_191
; %bb.192:                              ;   in Loop: Header=BB4_27 Depth=2
	s_or_b64 exec, exec, s[26:27]
.LBB4_193:                              ;   in Loop: Header=BB4_27 Depth=2
	s_or_b64 exec, exec, s[18:19]
	ds_write_b64 v1, v[32:33]
	ds_write_b32 v49, v5 offset:4096
	s_waitcnt lgkmcnt(0)
	s_barrier
	s_and_saveexec_b64 s[18:19], s[2:3]
	s_cbranch_execz .LBB4_199
; %bb.194:                              ;   in Loop: Header=BB4_27 Depth=2
	ds_read_b64 v[34:35], v1 offset:1024
	ds_read_b32 v36, v49 offset:4608
	s_waitcnt lgkmcnt(1)
	v_cmp_lt_f64_e64 s[26:27], v[32:33], v[34:35]
	v_cmp_nlt_f64_e32 vcc, v[32:33], v[34:35]
	s_and_saveexec_b64 s[30:31], vcc
	s_cbranch_execz .LBB4_196
; %bb.195:                              ;   in Loop: Header=BB4_27 Depth=2
	v_cmp_eq_f64_e32 vcc, v[32:33], v[34:35]
	s_waitcnt lgkmcnt(0)
	v_cmp_gt_i32_e64 s[0:1], v5, v36
	s_and_b64 s[0:1], vcc, s[0:1]
	s_andn2_b64 s[26:27], s[26:27], exec
	s_and_b64 s[0:1], s[0:1], exec
	s_or_b64 s[26:27], s[26:27], s[0:1]
.LBB4_196:                              ;   in Loop: Header=BB4_27 Depth=2
	s_or_b64 exec, exec, s[30:31]
	s_and_saveexec_b64 s[0:1], s[26:27]
	s_cbranch_execz .LBB4_198
; %bb.197:                              ;   in Loop: Header=BB4_27 Depth=2
	s_waitcnt lgkmcnt(0)
	v_mov_b32_e32 v5, v36
	v_mov_b64_e32 v[32:33], v[34:35]
	ds_write_b64 v1, v[34:35]
	ds_write_b32 v49, v36 offset:4096
.LBB4_198:                              ;   in Loop: Header=BB4_27 Depth=2
	s_or_b64 exec, exec, s[0:1]
.LBB4_199:                              ;   in Loop: Header=BB4_27 Depth=2
	s_or_b64 exec, exec, s[18:19]
	s_waitcnt lgkmcnt(0)
	s_barrier
	s_and_saveexec_b64 s[26:27], s[4:5]
	s_cbranch_execz .LBB4_226
; %bb.200:                              ;   in Loop: Header=BB4_27 Depth=2
	ds_read_b64 v[34:35], v1 offset:512
	ds_read_b32 v36, v49 offset:4352
	s_waitcnt lgkmcnt(1)
	v_cmp_lt_f64_e64 s[18:19], v[32:33], v[34:35]
	v_cmp_nlt_f64_e32 vcc, v[32:33], v[34:35]
	s_and_saveexec_b64 s[30:31], vcc
	s_cbranch_execz .LBB4_202
; %bb.201:                              ;   in Loop: Header=BB4_27 Depth=2
	v_cmp_eq_f64_e32 vcc, v[32:33], v[34:35]
	s_waitcnt lgkmcnt(0)
	v_cmp_gt_i32_e64 s[0:1], v5, v36
	s_and_b64 s[0:1], vcc, s[0:1]
	s_andn2_b64 s[18:19], s[18:19], exec
	s_and_b64 s[0:1], s[0:1], exec
	s_or_b64 s[18:19], s[18:19], s[0:1]
.LBB4_202:                              ;   in Loop: Header=BB4_27 Depth=2
	s_or_b64 exec, exec, s[30:31]
	s_and_saveexec_b64 s[0:1], s[18:19]
	s_cbranch_execz .LBB4_204
; %bb.203:                              ;   in Loop: Header=BB4_27 Depth=2
	v_mov_b64_e32 v[32:33], v[34:35]
	s_waitcnt lgkmcnt(0)
	v_mov_b32_e32 v5, v36
	ds_write_b64 v1, v[34:35]
	ds_write_b32 v49, v36 offset:4096
.LBB4_204:                              ;   in Loop: Header=BB4_27 Depth=2
	s_or_b64 exec, exec, s[0:1]
	ds_read_b64 v[34:35], v1 offset:256
	s_waitcnt lgkmcnt(1)
	ds_read_b32 v36, v49 offset:4224
	s_waitcnt lgkmcnt(1)
	v_cmp_lt_f64_e64 s[18:19], v[32:33], v[34:35]
	v_cmp_nlt_f64_e32 vcc, v[32:33], v[34:35]
	s_and_saveexec_b64 s[30:31], vcc
	s_cbranch_execz .LBB4_206
; %bb.205:                              ;   in Loop: Header=BB4_27 Depth=2
	v_cmp_eq_f64_e32 vcc, v[32:33], v[34:35]
	s_waitcnt lgkmcnt(0)
	v_cmp_gt_i32_e64 s[0:1], v5, v36
	s_and_b64 s[0:1], vcc, s[0:1]
	s_andn2_b64 s[18:19], s[18:19], exec
	s_and_b64 s[0:1], s[0:1], exec
	s_or_b64 s[18:19], s[18:19], s[0:1]
.LBB4_206:                              ;   in Loop: Header=BB4_27 Depth=2
	s_or_b64 exec, exec, s[30:31]
	s_and_saveexec_b64 s[0:1], s[18:19]
	s_cbranch_execz .LBB4_208
; %bb.207:                              ;   in Loop: Header=BB4_27 Depth=2
	v_mov_b64_e32 v[32:33], v[34:35]
	s_waitcnt lgkmcnt(0)
	v_mov_b32_e32 v5, v36
	ds_write_b64 v1, v[34:35]
	ds_write_b32 v49, v36 offset:4096
.LBB4_208:                              ;   in Loop: Header=BB4_27 Depth=2
	s_or_b64 exec, exec, s[0:1]
	ds_read_b64 v[34:35], v1 offset:128
	s_waitcnt lgkmcnt(1)
	;; [unrolled: 28-line block ×6, first 2 shown]
	ds_read_b32 v36, v49 offset:4100
	s_waitcnt lgkmcnt(1)
	v_cmp_eq_f64_e64 s[0:1], v[32:33], v[34:35]
	s_waitcnt lgkmcnt(0)
	v_cmp_gt_i32_e64 s[18:19], v5, v36
	v_cmp_lt_f64_e32 vcc, v[32:33], v[34:35]
	s_and_b64 s[0:1], s[0:1], s[18:19]
	s_or_b64 s[0:1], vcc, s[0:1]
	s_and_b64 exec, exec, s[0:1]
	s_cbranch_execz .LBB4_226
; %bb.225:                              ;   in Loop: Header=BB4_27 Depth=2
	ds_write_b64 v1, v[34:35]
	ds_write_b32 v49, v36 offset:4096
.LBB4_226:                              ;   in Loop: Header=BB4_27 Depth=2
	s_or_b64 exec, exec, s[26:27]
	v_mov_b64_e32 v[32:33], 0
	s_and_saveexec_b64 s[0:1], s[12:13]
	s_cbranch_execz .LBB4_230
; %bb.227:                              ;   in Loop: Header=BB4_27 Depth=2
	v_mov_b64_e32 v[32:33], 0
	s_mov_b64 s[18:19], 0
	v_mov_b64_e32 v[34:35], v[10:11]
	v_mov_b32_e32 v5, v0
.LBB4_228:                              ;   Parent Loop BB4_17 Depth=1
                                        ;     Parent Loop BB4_27 Depth=2
                                        ; =>    This Inner Loop Header: Depth=3
	global_load_dwordx2 v[36:37], v[34:35], off
	v_add_u32_e32 v5, 0x100, v5
	v_cmp_ge_u32_e32 vcc, v5, v53
	v_lshl_add_u64 v[34:35], v[34:35], 0, s[86:87]
	s_or_b64 s[18:19], vcc, s[18:19]
	s_waitcnt vmcnt(0)
	v_fmac_f64_e32 v[32:33], v[36:37], v[36:37]
	s_andn2_b64 exec, exec, s[18:19]
	s_cbranch_execnz .LBB4_228
; %bb.229:                              ;   in Loop: Header=BB4_27 Depth=2
	s_or_b64 exec, exec, s[18:19]
.LBB4_230:                              ;   in Loop: Header=BB4_27 Depth=2
	s_or_b64 exec, exec, s[0:1]
	v_add_u32_e32 v5, v49, v48
	ds_write_b64 v5, v[32:33] offset:2048
	s_waitcnt lgkmcnt(0)
	s_barrier
	s_and_saveexec_b64 s[0:1], s[2:3]
	s_cbranch_execz .LBB4_232
; %bb.231:                              ;   in Loop: Header=BB4_27 Depth=2
	ds_read_b64 v[34:35], v5 offset:3072
	s_waitcnt lgkmcnt(0)
	v_add_f64 v[32:33], v[32:33], v[34:35]
.LBB4_232:                              ;   in Loop: Header=BB4_27 Depth=2
	s_or_b64 exec, exec, s[0:1]
	s_barrier
	s_and_saveexec_b64 s[0:1], s[2:3]
; %bb.233:                              ;   in Loop: Header=BB4_27 Depth=2
	ds_write_b64 v5, v[32:33] offset:2048
; %bb.234:                              ;   in Loop: Header=BB4_27 Depth=2
	s_or_b64 exec, exec, s[0:1]
	s_waitcnt lgkmcnt(0)
	s_barrier
	s_and_saveexec_b64 s[0:1], s[4:5]
	s_cbranch_execz .LBB4_236
; %bb.235:                              ;   in Loop: Header=BB4_27 Depth=2
	ds_read2st64_b64 v[32:35], v5 offset0:4 offset1:5
	v_add_u32_e32 v36, 0x800, v5
	s_waitcnt lgkmcnt(0)
	v_add_f64 v[32:33], v[32:33], v[34:35]
	ds_write_b64 v5, v[32:33] offset:2048
	buffer_wbl2 sc1
	s_waitcnt vmcnt(0) lgkmcnt(0)
	buffer_inv sc1
	ds_read2_b64 v[32:35], v36 offset1:32
	s_waitcnt lgkmcnt(0)
	v_add_f64 v[32:33], v[32:33], v[34:35]
	ds_write_b64 v5, v[32:33] offset:2048
	buffer_wbl2 sc1
	s_waitcnt lgkmcnt(0)
	buffer_inv sc1
	ds_read2_b64 v[32:35], v36 offset1:16
	s_waitcnt lgkmcnt(0)
	v_add_f64 v[32:33], v[32:33], v[34:35]
	ds_write_b64 v5, v[32:33] offset:2048
	buffer_wbl2 sc1
	s_waitcnt lgkmcnt(0)
	;; [unrolled: 7-line block ×6, first 2 shown]
	buffer_inv sc1
.LBB4_236:                              ;   in Loop: Header=BB4_27 Depth=2
	s_or_b64 exec, exec, s[0:1]
	s_and_saveexec_b64 s[0:1], s[16:17]
	s_cbranch_execz .LBB4_238
; %bb.237:                              ;   in Loop: Header=BB4_27 Depth=2
	ds_read_b64 v[32:33], v52 offset:2048
	s_mov_b32 s6, 0
	s_brev_b32 s7, 8
	s_waitcnt lgkmcnt(0)
	v_cmp_gt_f64_e32 vcc, s[6:7], v[32:33]
	s_and_b64 s[18:19], vcc, exec
	s_cselect_b32 s11, 0x100, 0
	v_ldexp_f64 v[32:33], v[32:33], s11
	v_rsq_f64_e32 v[34:35], v[32:33]
	s_cselect_b32 s11, 0xffffff80, 0
	v_cmp_class_f64_e32 vcc, v[32:33], v50
	v_mul_f64 v[36:37], v[32:33], v[34:35]
	v_mul_f64 v[34:35], v[34:35], 0.5
	v_fma_f64 v[38:39], -v[34:35], v[36:37], 0.5
	v_fmac_f64_e32 v[36:37], v[36:37], v[38:39]
	v_fmac_f64_e32 v[34:35], v[34:35], v[38:39]
	v_fma_f64 v[38:39], -v[36:37], v[36:37], v[32:33]
	v_fmac_f64_e32 v[36:37], v[38:39], v[34:35]
	v_fma_f64 v[38:39], -v[36:37], v[36:37], v[32:33]
	v_fmac_f64_e32 v[36:37], v[38:39], v[34:35]
	v_ldexp_f64 v[34:35], v[36:37], s11
	v_cndmask_b32_e32 v33, v35, v33, vcc
	v_cndmask_b32_e32 v32, v34, v32, vcc
	ds_write_b64 v52, v[32:33] offset:2048
.LBB4_238:                              ;   in Loop: Header=BB4_27 Depth=2
	s_or_b64 exec, exec, s[0:1]
	s_waitcnt lgkmcnt(0)
	s_barrier
	ds_read_b32 v34, v52 offset:4096
	ds_read_b64 v[32:33], v52 offset:2048
	s_waitcnt lgkmcnt(1)
	v_ashrrev_i32_e32 v35, 31, v34
	v_lshlrev_b64 v[34:35], 3, v[34:35]
	v_lshl_add_u64 v[34:35], s[20:21], 0, v[34:35]
	global_load_dwordx2 v[34:35], v[34:35], off offset:-8
	s_waitcnt lgkmcnt(0)
	s_barrier
	s_and_saveexec_b64 s[0:1], s[8:9]
	s_cbranch_execz .LBB4_241
; %bb.239:                              ;   in Loop: Header=BB4_27 Depth=2
	s_waitcnt vmcnt(0)
	v_cmp_nle_f64_e32 vcc, 0, v[34:35]
	s_and_b64 s[18:19], vcc, exec
	s_mov_b32 s11, 0xbff00000
	s_cselect_b32 s19, s11, 0x3ff00000
	s_mov_b32 s18, s39
	v_div_scale_f64 v[34:35], s[26:27], v[32:33], v[32:33], s[18:19]
	v_rcp_f64_e32 v[36:37], v[34:35]
	v_mov_b32_e32 v5, v0
	v_fma_f64 v[38:39], -v[34:35], v[36:37], 1.0
	v_fmac_f64_e32 v[36:37], v[36:37], v[38:39]
	v_fma_f64 v[38:39], -v[34:35], v[36:37], 1.0
	v_fmac_f64_e32 v[36:37], v[36:37], v[38:39]
	v_div_scale_f64 v[38:39], vcc, s[18:19], v[32:33], s[18:19]
	v_mul_f64 v[40:41], v[38:39], v[36:37]
	v_fma_f64 v[34:35], -v[34:35], v[40:41], v[38:39]
	s_nop 1
	v_div_fmas_f64 v[34:35], v[34:35], v[36:37], v[40:41]
	v_div_fixup_f64 v[32:33], v[34:35], v[32:33], s[18:19]
	s_mov_b64 s[18:19], 0
	v_mov_b64_e32 v[34:35], v[10:11]
.LBB4_240:                              ;   Parent Loop BB4_17 Depth=1
                                        ;     Parent Loop BB4_27 Depth=2
                                        ; =>    This Inner Loop Header: Depth=3
	global_load_dwordx2 v[36:37], v[34:35], off
	v_add_u32_e32 v5, 0x100, v5
	v_cmp_lt_i32_e32 vcc, s96, v5
	s_or_b64 s[18:19], vcc, s[18:19]
	s_waitcnt vmcnt(0)
	v_mul_f64 v[36:37], v[32:33], v[36:37]
	global_store_dwordx2 v[34:35], v[36:37], off
	v_lshl_add_u64 v[34:35], v[34:35], 0, s[86:87]
	s_andn2_b64 exec, exec, s[18:19]
	s_cbranch_execnz .LBB4_240
.LBB4_241:                              ;   in Loop: Header=BB4_27 Depth=2
	s_or_b64 exec, exec, s[0:1]
	s_barrier
	v_mov_b64_e32 v[32:33], v[2:3]
	s_and_saveexec_b64 s[18:19], s[98:99]
	s_cbranch_execz .LBB4_26
.LBB4_242:                              ;   in Loop: Header=BB4_27 Depth=2
	s_mov_b64 s[26:27], 0
	s_waitcnt vmcnt(0)
	v_mov_b32_e32 v34, v0
	s_branch .LBB4_244
.LBB4_243:                              ;   in Loop: Header=BB4_244 Depth=3
	s_or_b64 exec, exec, s[0:1]
	v_add_u32_e32 v36, s10, v34
	v_add_u32_e32 v34, 0x100, v34
	v_ashrrev_i32_e32 v37, 31, v36
	v_cmp_le_i32_e32 vcc, s24, v34
	v_lshl_add_u64 v[36:37], v[36:37], 4, s[28:29]
	v_mov_b32_e32 v5, v4
	s_or_b64 s[26:27], vcc, s[26:27]
	s_waitcnt vmcnt(0)
	global_store_dwordx4 v[36:37], v[2:5], off
	s_andn2_b64 exec, exec, s[26:27]
	s_cbranch_execz .LBB4_26
.LBB4_244:                              ;   Parent Loop BB4_17 Depth=1
                                        ;     Parent Loop BB4_27 Depth=2
                                        ; =>    This Inner Loop Header: Depth=3
	v_cmp_le_i32_e32 vcc, s92, v34
	v_cmp_gt_i32_e64 s[0:1], s94, v34
	s_and_b64 s[30:31], vcc, s[0:1]
	v_mov_b64_e32 v[2:3], 0
	s_and_saveexec_b64 s[0:1], s[30:31]
	s_cbranch_execz .LBB4_243
; %bb.245:                              ;   in Loop: Header=BB4_244 Depth=3
	v_add_u32_e32 v2, s95, v34
	v_mov_b32_e32 v3, v4
	v_lshl_add_u64 v[2:3], v[2:3], 3, s[20:21]
	global_load_dwordx2 v[2:3], v[2:3], off
	s_branch .LBB4_243
.LBB4_246:
	s_and_saveexec_b64 s[0:1], s[16:17]
	s_cbranch_execz .LBB4_248
; %bb.247:
	v_mov_b32_e32 v0, 0
	ds_read_b32 v1, v0
	v_readlane_b32 s0, v64, 0
	v_readlane_b32 s1, v64, 1
	s_add_u32 s0, s42, s0
	s_addc_u32 s1, s43, s1
	s_waitcnt lgkmcnt(0)
	s_nop 1
	global_store_dword v0, v1, s[0:1]
.LBB4_248:
	s_endpgm
	.section	.rodata,"a",@progbits
	.p2align	6, 0x0
	.amdhsa_kernel _ZN9rocsolver6v33100L12stein_kernelI19rocblas_complex_numIdEdPS3_EEviPT0_lS6_lPiS6_lS7_lS7_lT1_iilS7_lS7_S6_S7_S5_S5_
		.amdhsa_group_segment_fixed_size 8
		.amdhsa_private_segment_fixed_size 0
		.amdhsa_kernarg_size 176
		.amdhsa_user_sgpr_count 2
		.amdhsa_user_sgpr_dispatch_ptr 0
		.amdhsa_user_sgpr_queue_ptr 0
		.amdhsa_user_sgpr_kernarg_segment_ptr 1
		.amdhsa_user_sgpr_dispatch_id 0
		.amdhsa_user_sgpr_kernarg_preload_length 0
		.amdhsa_user_sgpr_kernarg_preload_offset 0
		.amdhsa_user_sgpr_private_segment_size 0
		.amdhsa_uses_dynamic_stack 0
		.amdhsa_enable_private_segment 0
		.amdhsa_system_sgpr_workgroup_id_x 1
		.amdhsa_system_sgpr_workgroup_id_y 1
		.amdhsa_system_sgpr_workgroup_id_z 0
		.amdhsa_system_sgpr_workgroup_info 0
		.amdhsa_system_vgpr_workitem_id 0
		.amdhsa_next_free_vgpr 65
		.amdhsa_next_free_sgpr 100
		.amdhsa_accum_offset 68
		.amdhsa_reserve_vcc 1
		.amdhsa_float_round_mode_32 0
		.amdhsa_float_round_mode_16_64 0
		.amdhsa_float_denorm_mode_32 3
		.amdhsa_float_denorm_mode_16_64 3
		.amdhsa_dx10_clamp 1
		.amdhsa_ieee_mode 1
		.amdhsa_fp16_overflow 0
		.amdhsa_tg_split 0
		.amdhsa_exception_fp_ieee_invalid_op 0
		.amdhsa_exception_fp_denorm_src 0
		.amdhsa_exception_fp_ieee_div_zero 0
		.amdhsa_exception_fp_ieee_overflow 0
		.amdhsa_exception_fp_ieee_underflow 0
		.amdhsa_exception_fp_ieee_inexact 0
		.amdhsa_exception_int_div_zero 0
	.end_amdhsa_kernel
	.section	.text._ZN9rocsolver6v33100L12stein_kernelI19rocblas_complex_numIdEdPS3_EEviPT0_lS6_lPiS6_lS7_lS7_lT1_iilS7_lS7_S6_S7_S5_S5_,"axG",@progbits,_ZN9rocsolver6v33100L12stein_kernelI19rocblas_complex_numIdEdPS3_EEviPT0_lS6_lPiS6_lS7_lS7_lT1_iilS7_lS7_S6_S7_S5_S5_,comdat
.Lfunc_end4:
	.size	_ZN9rocsolver6v33100L12stein_kernelI19rocblas_complex_numIdEdPS3_EEviPT0_lS6_lPiS6_lS7_lS7_lT1_iilS7_lS7_S6_S7_S5_S5_, .Lfunc_end4-_ZN9rocsolver6v33100L12stein_kernelI19rocblas_complex_numIdEdPS3_EEviPT0_lS6_lPiS6_lS7_lS7_lT1_iilS7_lS7_S6_S7_S5_S5_
                                        ; -- End function
	.set _ZN9rocsolver6v33100L12stein_kernelI19rocblas_complex_numIdEdPS3_EEviPT0_lS6_lPiS6_lS7_lS7_lT1_iilS7_lS7_S6_S7_S5_S5_.num_vgpr, 65
	.set _ZN9rocsolver6v33100L12stein_kernelI19rocblas_complex_numIdEdPS3_EEviPT0_lS6_lPiS6_lS7_lS7_lT1_iilS7_lS7_S6_S7_S5_S5_.num_agpr, 0
	.set _ZN9rocsolver6v33100L12stein_kernelI19rocblas_complex_numIdEdPS3_EEviPT0_lS6_lPiS6_lS7_lS7_lT1_iilS7_lS7_S6_S7_S5_S5_.numbered_sgpr, 100
	.set _ZN9rocsolver6v33100L12stein_kernelI19rocblas_complex_numIdEdPS3_EEviPT0_lS6_lPiS6_lS7_lS7_lT1_iilS7_lS7_S6_S7_S5_S5_.num_named_barrier, 0
	.set _ZN9rocsolver6v33100L12stein_kernelI19rocblas_complex_numIdEdPS3_EEviPT0_lS6_lPiS6_lS7_lS7_lT1_iilS7_lS7_S6_S7_S5_S5_.private_seg_size, 0
	.set _ZN9rocsolver6v33100L12stein_kernelI19rocblas_complex_numIdEdPS3_EEviPT0_lS6_lPiS6_lS7_lS7_lT1_iilS7_lS7_S6_S7_S5_S5_.uses_vcc, 1
	.set _ZN9rocsolver6v33100L12stein_kernelI19rocblas_complex_numIdEdPS3_EEviPT0_lS6_lPiS6_lS7_lS7_lT1_iilS7_lS7_S6_S7_S5_S5_.uses_flat_scratch, 0
	.set _ZN9rocsolver6v33100L12stein_kernelI19rocblas_complex_numIdEdPS3_EEviPT0_lS6_lPiS6_lS7_lS7_lT1_iilS7_lS7_S6_S7_S5_S5_.has_dyn_sized_stack, 0
	.set _ZN9rocsolver6v33100L12stein_kernelI19rocblas_complex_numIdEdPS3_EEviPT0_lS6_lPiS6_lS7_lS7_lT1_iilS7_lS7_S6_S7_S5_S5_.has_recursion, 0
	.set _ZN9rocsolver6v33100L12stein_kernelI19rocblas_complex_numIdEdPS3_EEviPT0_lS6_lPiS6_lS7_lS7_lT1_iilS7_lS7_S6_S7_S5_S5_.has_indirect_call, 0
	.section	.AMDGPU.csdata,"",@progbits
; Kernel info:
; codeLenInByte = 10588
; TotalNumSgprs: 106
; NumVgprs: 65
; NumAgprs: 0
; TotalNumVgprs: 65
; ScratchSize: 0
; MemoryBound: 1
; FloatMode: 240
; IeeeMode: 1
; LDSByteSize: 8 bytes/workgroup (compile time only)
; SGPRBlocks: 13
; VGPRBlocks: 8
; NumSGPRsForWavesPerEU: 106
; NumVGPRsForWavesPerEU: 65
; AccumOffset: 68
; Occupancy: 7
; WaveLimiterHint : 1
; COMPUTE_PGM_RSRC2:SCRATCH_EN: 0
; COMPUTE_PGM_RSRC2:USER_SGPR: 2
; COMPUTE_PGM_RSRC2:TRAP_HANDLER: 0
; COMPUTE_PGM_RSRC2:TGID_X_EN: 1
; COMPUTE_PGM_RSRC2:TGID_Y_EN: 1
; COMPUTE_PGM_RSRC2:TGID_Z_EN: 0
; COMPUTE_PGM_RSRC2:TIDIG_COMP_CNT: 0
; COMPUTE_PGM_RSRC3_GFX90A:ACCUM_OFFSET: 16
; COMPUTE_PGM_RSRC3_GFX90A:TG_SPLIT: 0
	.section	.AMDGPU.gpr_maximums,"",@progbits
	.set amdgpu.max_num_vgpr, 0
	.set amdgpu.max_num_agpr, 0
	.set amdgpu.max_num_sgpr, 0
	.section	.AMDGPU.csdata,"",@progbits
	.type	__hip_cuid_5b4df8dcfaf3627c,@object ; @__hip_cuid_5b4df8dcfaf3627c
	.section	.bss,"aw",@nobits
	.globl	__hip_cuid_5b4df8dcfaf3627c
__hip_cuid_5b4df8dcfaf3627c:
	.byte	0                               ; 0x0
	.size	__hip_cuid_5b4df8dcfaf3627c, 1

	.ident	"AMD clang version 22.0.0git (https://github.com/RadeonOpenCompute/llvm-project roc-7.2.4 26084 f58b06dce1f9c15707c5f808fd002e18c2accf7e)"
	.section	".note.GNU-stack","",@progbits
	.addrsig
	.addrsig_sym __hip_cuid_5b4df8dcfaf3627c
	.amdgpu_metadata
---
amdhsa.kernels:
  - .agpr_count:     0
    .args:
      - .address_space:  global
        .offset:         0
        .size:           8
        .value_kind:     global_buffer
      - .offset:         8
        .size:           4
        .value_kind:     by_value
      - .offset:         12
        .size:           4
        .value_kind:     by_value
      - .offset:         16
        .size:           4
        .value_kind:     by_value
      - .offset:         24
        .size:           4
        .value_kind:     hidden_block_count_x
      - .offset:         28
        .size:           4
        .value_kind:     hidden_block_count_y
      - .offset:         32
        .size:           4
        .value_kind:     hidden_block_count_z
      - .offset:         36
        .size:           2
        .value_kind:     hidden_group_size_x
      - .offset:         38
        .size:           2
        .value_kind:     hidden_group_size_y
      - .offset:         40
        .size:           2
        .value_kind:     hidden_group_size_z
      - .offset:         42
        .size:           2
        .value_kind:     hidden_remainder_x
      - .offset:         44
        .size:           2
        .value_kind:     hidden_remainder_y
      - .offset:         46
        .size:           2
        .value_kind:     hidden_remainder_z
      - .offset:         64
        .size:           8
        .value_kind:     hidden_global_offset_x
      - .offset:         72
        .size:           8
        .value_kind:     hidden_global_offset_y
      - .offset:         80
        .size:           8
        .value_kind:     hidden_global_offset_z
      - .offset:         88
        .size:           2
        .value_kind:     hidden_grid_dims
    .group_segment_fixed_size: 0
    .kernarg_segment_align: 8
    .kernarg_segment_size: 280
    .language:       OpenCL C
    .language_version:
      - 2
      - 0
    .max_flat_workgroup_size: 1024
    .name:           _ZN9rocsolver6v33100L10reset_infoIiiiEEvPT_T0_T1_S4_
    .private_segment_fixed_size: 0
    .sgpr_count:     14
    .sgpr_spill_count: 0
    .symbol:         _ZN9rocsolver6v33100L10reset_infoIiiiEEvPT_T0_T1_S4_.kd
    .uniform_work_group_size: 1
    .uses_dynamic_stack: false
    .vgpr_count:     3
    .vgpr_spill_count: 0
    .wavefront_size: 64
  - .agpr_count:     0
    .args:
      - .offset:         0
        .size:           4
        .value_kind:     by_value
      - .address_space:  global
        .offset:         8
        .size:           8
        .value_kind:     global_buffer
      - .offset:         16
        .size:           8
        .value_kind:     by_value
      - .address_space:  global
        .offset:         24
        .size:           8
        .value_kind:     global_buffer
      - .offset:         32
        .size:           8
        .value_kind:     by_value
      - .address_space:  global
        .offset:         40
        .size:           8
        .value_kind:     global_buffer
      - .address_space:  global
        .offset:         48
        .size:           8
        .value_kind:     global_buffer
      - .offset:         56
        .size:           8
        .value_kind:     by_value
      - .address_space:  global
        .offset:         64
        .size:           8
        .value_kind:     global_buffer
      - .offset:         72
        .size:           8
        .value_kind:     by_value
      - .address_space:  global
        .offset:         80
        .size:           8
        .value_kind:     global_buffer
      - .offset:         88
        .size:           8
        .value_kind:     by_value
      - .address_space:  global
        .offset:         96
        .size:           8
        .value_kind:     global_buffer
      - .offset:         104
        .size:           4
        .value_kind:     by_value
      - .offset:         108
        .size:           4
        .value_kind:     by_value
      - .offset:         112
        .size:           8
        .value_kind:     by_value
      - .address_space:  global
        .offset:         120
        .size:           8
        .value_kind:     global_buffer
      - .offset:         128
        .size:           8
        .value_kind:     by_value
      - .address_space:  global
        .offset:         136
        .size:           8
        .value_kind:     global_buffer
      - .address_space:  global
        .offset:         144
        .size:           8
        .value_kind:     global_buffer
      - .address_space:  global
        .offset:         152
        .size:           8
        .value_kind:     global_buffer
      - .offset:         160
        .size:           4
        .value_kind:     by_value
      - .offset:         164
        .size:           4
        .value_kind:     by_value
    .group_segment_fixed_size: 8
    .kernarg_segment_align: 8
    .kernarg_segment_size: 168
    .language:       OpenCL C
    .language_version:
      - 2
      - 0
    .max_flat_workgroup_size: 256
    .name:           _ZN9rocsolver6v33100L12stein_kernelIffPfEEviPT0_lS4_lPiS4_lS5_lS5_lT1_iilS5_lS5_S4_S5_S3_S3_
    .private_segment_fixed_size: 0
    .sgpr_count:     106
    .sgpr_spill_count: 27
    .symbol:         _ZN9rocsolver6v33100L12stein_kernelIffPfEEviPT0_lS4_lPiS4_lS5_lS5_lT1_iilS5_lS5_S4_S5_S3_S3_.kd
    .uniform_work_group_size: 1
    .uses_dynamic_stack: false
    .vgpr_count:     49
    .vgpr_spill_count: 0
    .wavefront_size: 64
  - .agpr_count:     0
    .args:
      - .offset:         0
        .size:           4
        .value_kind:     by_value
      - .address_space:  global
        .offset:         8
        .size:           8
        .value_kind:     global_buffer
      - .offset:         16
        .size:           8
        .value_kind:     by_value
      - .address_space:  global
        .offset:         24
        .size:           8
        .value_kind:     global_buffer
      - .offset:         32
        .size:           8
        .value_kind:     by_value
      - .address_space:  global
        .offset:         40
        .size:           8
        .value_kind:     global_buffer
      - .address_space:  global
        .offset:         48
        .size:           8
        .value_kind:     global_buffer
      - .offset:         56
        .size:           8
        .value_kind:     by_value
      - .address_space:  global
        .offset:         64
        .size:           8
        .value_kind:     global_buffer
      - .offset:         72
        .size:           8
        .value_kind:     by_value
      - .address_space:  global
        .offset:         80
        .size:           8
        .value_kind:     global_buffer
      - .offset:         88
        .size:           8
        .value_kind:     by_value
      - .address_space:  global
        .offset:         96
        .size:           8
        .value_kind:     global_buffer
      - .offset:         104
        .size:           4
        .value_kind:     by_value
      - .offset:         108
        .size:           4
        .value_kind:     by_value
      - .offset:         112
        .size:           8
        .value_kind:     by_value
      - .address_space:  global
        .offset:         120
        .size:           8
        .value_kind:     global_buffer
      - .offset:         128
        .size:           8
        .value_kind:     by_value
      - .address_space:  global
        .offset:         136
        .size:           8
        .value_kind:     global_buffer
      - .address_space:  global
        .offset:         144
        .size:           8
        .value_kind:     global_buffer
      - .address_space:  global
        .offset:         152
        .size:           8
        .value_kind:     global_buffer
      - .offset:         160
        .size:           8
        .value_kind:     by_value
      - .offset:         168
        .size:           8
        .value_kind:     by_value
    .group_segment_fixed_size: 8
    .kernarg_segment_align: 8
    .kernarg_segment_size: 176
    .language:       OpenCL C
    .language_version:
      - 2
      - 0
    .max_flat_workgroup_size: 256
    .name:           _ZN9rocsolver6v33100L12stein_kernelIddPdEEviPT0_lS4_lPiS4_lS5_lS5_lT1_iilS5_lS5_S4_S5_S3_S3_
    .private_segment_fixed_size: 0
    .sgpr_count:     106
    .sgpr_spill_count: 34
    .symbol:         _ZN9rocsolver6v33100L12stein_kernelIddPdEEviPT0_lS4_lPiS4_lS5_lS5_lT1_iilS5_lS5_S4_S5_S3_S3_.kd
    .uniform_work_group_size: 1
    .uses_dynamic_stack: false
    .vgpr_count:     65
    .vgpr_spill_count: 0
    .wavefront_size: 64
  - .agpr_count:     0
    .args:
      - .offset:         0
        .size:           4
        .value_kind:     by_value
      - .address_space:  global
        .offset:         8
        .size:           8
        .value_kind:     global_buffer
      - .offset:         16
        .size:           8
        .value_kind:     by_value
      - .address_space:  global
        .offset:         24
        .size:           8
        .value_kind:     global_buffer
      - .offset:         32
        .size:           8
        .value_kind:     by_value
      - .address_space:  global
        .offset:         40
        .size:           8
        .value_kind:     global_buffer
      - .address_space:  global
        .offset:         48
        .size:           8
        .value_kind:     global_buffer
      - .offset:         56
        .size:           8
        .value_kind:     by_value
      - .address_space:  global
        .offset:         64
        .size:           8
        .value_kind:     global_buffer
      - .offset:         72
        .size:           8
        .value_kind:     by_value
      - .address_space:  global
        .offset:         80
        .size:           8
        .value_kind:     global_buffer
      - .offset:         88
        .size:           8
        .value_kind:     by_value
      - .address_space:  global
        .offset:         96
        .size:           8
        .value_kind:     global_buffer
      - .offset:         104
        .size:           4
        .value_kind:     by_value
      - .offset:         108
        .size:           4
        .value_kind:     by_value
      - .offset:         112
        .size:           8
        .value_kind:     by_value
      - .address_space:  global
        .offset:         120
        .size:           8
        .value_kind:     global_buffer
      - .offset:         128
        .size:           8
        .value_kind:     by_value
      - .address_space:  global
        .offset:         136
        .size:           8
        .value_kind:     global_buffer
      - .address_space:  global
        .offset:         144
        .size:           8
        .value_kind:     global_buffer
      - .address_space:  global
        .offset:         152
        .size:           8
        .value_kind:     global_buffer
      - .offset:         160
        .size:           4
        .value_kind:     by_value
      - .offset:         164
        .size:           4
        .value_kind:     by_value
    .group_segment_fixed_size: 8
    .kernarg_segment_align: 8
    .kernarg_segment_size: 168
    .language:       OpenCL C
    .language_version:
      - 2
      - 0
    .max_flat_workgroup_size: 256
    .name:           _ZN9rocsolver6v33100L12stein_kernelI19rocblas_complex_numIfEfPS3_EEviPT0_lS6_lPiS6_lS7_lS7_lT1_iilS7_lS7_S6_S7_S5_S5_
    .private_segment_fixed_size: 0
    .sgpr_count:     106
    .sgpr_spill_count: 27
    .symbol:         _ZN9rocsolver6v33100L12stein_kernelI19rocblas_complex_numIfEfPS3_EEviPT0_lS6_lPiS6_lS7_lS7_lT1_iilS7_lS7_S6_S7_S5_S5_.kd
    .uniform_work_group_size: 1
    .uses_dynamic_stack: false
    .vgpr_count:     49
    .vgpr_spill_count: 0
    .wavefront_size: 64
  - .agpr_count:     0
    .args:
      - .offset:         0
        .size:           4
        .value_kind:     by_value
      - .address_space:  global
        .offset:         8
        .size:           8
        .value_kind:     global_buffer
      - .offset:         16
        .size:           8
        .value_kind:     by_value
      - .address_space:  global
        .offset:         24
        .size:           8
        .value_kind:     global_buffer
      - .offset:         32
        .size:           8
        .value_kind:     by_value
      - .address_space:  global
        .offset:         40
        .size:           8
        .value_kind:     global_buffer
      - .address_space:  global
        .offset:         48
        .size:           8
        .value_kind:     global_buffer
      - .offset:         56
        .size:           8
        .value_kind:     by_value
      - .address_space:  global
        .offset:         64
        .size:           8
        .value_kind:     global_buffer
      - .offset:         72
        .size:           8
        .value_kind:     by_value
      - .address_space:  global
        .offset:         80
        .size:           8
        .value_kind:     global_buffer
      - .offset:         88
        .size:           8
        .value_kind:     by_value
      - .address_space:  global
        .offset:         96
        .size:           8
        .value_kind:     global_buffer
      - .offset:         104
        .size:           4
        .value_kind:     by_value
      - .offset:         108
        .size:           4
        .value_kind:     by_value
      - .offset:         112
        .size:           8
        .value_kind:     by_value
      - .address_space:  global
        .offset:         120
        .size:           8
        .value_kind:     global_buffer
      - .offset:         128
        .size:           8
        .value_kind:     by_value
      - .address_space:  global
        .offset:         136
        .size:           8
        .value_kind:     global_buffer
      - .address_space:  global
        .offset:         144
        .size:           8
        .value_kind:     global_buffer
      - .address_space:  global
        .offset:         152
        .size:           8
        .value_kind:     global_buffer
      - .offset:         160
        .size:           8
        .value_kind:     by_value
      - .offset:         168
        .size:           8
        .value_kind:     by_value
    .group_segment_fixed_size: 8
    .kernarg_segment_align: 8
    .kernarg_segment_size: 176
    .language:       OpenCL C
    .language_version:
      - 2
      - 0
    .max_flat_workgroup_size: 256
    .name:           _ZN9rocsolver6v33100L12stein_kernelI19rocblas_complex_numIdEdPS3_EEviPT0_lS6_lPiS6_lS7_lS7_lT1_iilS7_lS7_S6_S7_S5_S5_
    .private_segment_fixed_size: 0
    .sgpr_count:     106
    .sgpr_spill_count: 34
    .symbol:         _ZN9rocsolver6v33100L12stein_kernelI19rocblas_complex_numIdEdPS3_EEviPT0_lS6_lPiS6_lS7_lS7_lT1_iilS7_lS7_S6_S7_S5_S5_.kd
    .uniform_work_group_size: 1
    .uses_dynamic_stack: false
    .vgpr_count:     65
    .vgpr_spill_count: 0
    .wavefront_size: 64
amdhsa.target:   amdgcn-amd-amdhsa--gfx950
amdhsa.version:
  - 1
  - 2
...

	.end_amdgpu_metadata
